;; amdgpu-corpus repo=ROCm/rocFFT kind=compiled arch=gfx906 opt=O3
	.text
	.amdgcn_target "amdgcn-amd-amdhsa--gfx906"
	.amdhsa_code_object_version 6
	.protected	fft_rtc_back_len2002_factors_2_13_7_11_wgs_182_tpt_182_halfLds_half_ip_CI_unitstride_sbrr_C2R_dirReg ; -- Begin function fft_rtc_back_len2002_factors_2_13_7_11_wgs_182_tpt_182_halfLds_half_ip_CI_unitstride_sbrr_C2R_dirReg
	.globl	fft_rtc_back_len2002_factors_2_13_7_11_wgs_182_tpt_182_halfLds_half_ip_CI_unitstride_sbrr_C2R_dirReg
	.p2align	8
	.type	fft_rtc_back_len2002_factors_2_13_7_11_wgs_182_tpt_182_halfLds_half_ip_CI_unitstride_sbrr_C2R_dirReg,@function
fft_rtc_back_len2002_factors_2_13_7_11_wgs_182_tpt_182_halfLds_half_ip_CI_unitstride_sbrr_C2R_dirReg: ; @fft_rtc_back_len2002_factors_2_13_7_11_wgs_182_tpt_182_halfLds_half_ip_CI_unitstride_sbrr_C2R_dirReg
; %bb.0:
	s_load_dwordx2 s[2:3], s[4:5], 0x50
	s_load_dwordx4 s[8:11], s[4:5], 0x0
	s_load_dwordx2 s[12:13], s[4:5], 0x18
	v_mul_u32_u24_e32 v1, 0x169, v0
	v_add_u32_sdwa v5, s6, v1 dst_sel:DWORD dst_unused:UNUSED_PAD src0_sel:DWORD src1_sel:WORD_1
	v_mov_b32_e32 v3, 0
	s_waitcnt lgkmcnt(0)
	v_cmp_lt_u64_e64 s[0:1], s[10:11], 2
	v_mov_b32_e32 v1, 0
	v_mov_b32_e32 v6, v3
	s_and_b64 vcc, exec, s[0:1]
	v_mov_b32_e32 v2, 0
	s_cbranch_vccnz .LBB0_8
; %bb.1:
	s_load_dwordx2 s[0:1], s[4:5], 0x10
	s_add_u32 s6, s12, 8
	s_addc_u32 s7, s13, 0
	v_mov_b32_e32 v1, 0
	v_mov_b32_e32 v2, 0
	s_waitcnt lgkmcnt(0)
	s_add_u32 s14, s0, 8
	s_addc_u32 s15, s1, 0
	s_mov_b64 s[16:17], 1
.LBB0_2:                                ; =>This Inner Loop Header: Depth=1
	s_load_dwordx2 s[18:19], s[14:15], 0x0
                                        ; implicit-def: $vgpr7_vgpr8
	s_waitcnt lgkmcnt(0)
	v_or_b32_e32 v4, s19, v6
	v_cmp_ne_u64_e32 vcc, 0, v[3:4]
	s_and_saveexec_b64 s[0:1], vcc
	s_xor_b64 s[20:21], exec, s[0:1]
	s_cbranch_execz .LBB0_4
; %bb.3:                                ;   in Loop: Header=BB0_2 Depth=1
	v_cvt_f32_u32_e32 v4, s18
	v_cvt_f32_u32_e32 v7, s19
	s_sub_u32 s0, 0, s18
	s_subb_u32 s1, 0, s19
	v_mac_f32_e32 v4, 0x4f800000, v7
	v_rcp_f32_e32 v4, v4
	v_mul_f32_e32 v4, 0x5f7ffffc, v4
	v_mul_f32_e32 v7, 0x2f800000, v4
	v_trunc_f32_e32 v7, v7
	v_mac_f32_e32 v4, 0xcf800000, v7
	v_cvt_u32_f32_e32 v7, v7
	v_cvt_u32_f32_e32 v4, v4
	v_mul_lo_u32 v8, s0, v7
	v_mul_hi_u32 v9, s0, v4
	v_mul_lo_u32 v11, s1, v4
	v_mul_lo_u32 v10, s0, v4
	v_add_u32_e32 v8, v9, v8
	v_add_u32_e32 v8, v8, v11
	v_mul_hi_u32 v9, v4, v10
	v_mul_lo_u32 v11, v4, v8
	v_mul_hi_u32 v13, v4, v8
	v_mul_hi_u32 v12, v7, v10
	v_mul_lo_u32 v10, v7, v10
	v_mul_hi_u32 v14, v7, v8
	v_add_co_u32_e32 v9, vcc, v9, v11
	v_addc_co_u32_e32 v11, vcc, 0, v13, vcc
	v_mul_lo_u32 v8, v7, v8
	v_add_co_u32_e32 v9, vcc, v9, v10
	v_addc_co_u32_e32 v9, vcc, v11, v12, vcc
	v_addc_co_u32_e32 v10, vcc, 0, v14, vcc
	v_add_co_u32_e32 v8, vcc, v9, v8
	v_addc_co_u32_e32 v9, vcc, 0, v10, vcc
	v_add_co_u32_e32 v4, vcc, v4, v8
	v_addc_co_u32_e32 v7, vcc, v7, v9, vcc
	v_mul_lo_u32 v8, s0, v7
	v_mul_hi_u32 v9, s0, v4
	v_mul_lo_u32 v10, s1, v4
	v_mul_lo_u32 v11, s0, v4
	v_add_u32_e32 v8, v9, v8
	v_add_u32_e32 v8, v8, v10
	v_mul_lo_u32 v12, v4, v8
	v_mul_hi_u32 v13, v4, v11
	v_mul_hi_u32 v14, v4, v8
	;; [unrolled: 1-line block ×3, first 2 shown]
	v_mul_lo_u32 v11, v7, v11
	v_mul_hi_u32 v9, v7, v8
	v_add_co_u32_e32 v12, vcc, v13, v12
	v_addc_co_u32_e32 v13, vcc, 0, v14, vcc
	v_mul_lo_u32 v8, v7, v8
	v_add_co_u32_e32 v11, vcc, v12, v11
	v_addc_co_u32_e32 v10, vcc, v13, v10, vcc
	v_addc_co_u32_e32 v9, vcc, 0, v9, vcc
	v_add_co_u32_e32 v8, vcc, v10, v8
	v_addc_co_u32_e32 v9, vcc, 0, v9, vcc
	v_add_co_u32_e32 v4, vcc, v4, v8
	v_addc_co_u32_e32 v9, vcc, v7, v9, vcc
	v_mad_u64_u32 v[7:8], s[0:1], v5, v9, 0
	v_mul_hi_u32 v10, v5, v4
	v_add_co_u32_e32 v11, vcc, v10, v7
	v_addc_co_u32_e32 v12, vcc, 0, v8, vcc
	v_mad_u64_u32 v[7:8], s[0:1], v6, v4, 0
	v_mad_u64_u32 v[9:10], s[0:1], v6, v9, 0
	v_add_co_u32_e32 v4, vcc, v11, v7
	v_addc_co_u32_e32 v4, vcc, v12, v8, vcc
	v_addc_co_u32_e32 v7, vcc, 0, v10, vcc
	v_add_co_u32_e32 v4, vcc, v4, v9
	v_addc_co_u32_e32 v9, vcc, 0, v7, vcc
	v_mul_lo_u32 v10, s19, v4
	v_mul_lo_u32 v11, s18, v9
	v_mad_u64_u32 v[7:8], s[0:1], s18, v4, 0
	v_add3_u32 v8, v8, v11, v10
	v_sub_u32_e32 v10, v6, v8
	v_mov_b32_e32 v11, s19
	v_sub_co_u32_e32 v7, vcc, v5, v7
	v_subb_co_u32_e64 v10, s[0:1], v10, v11, vcc
	v_subrev_co_u32_e64 v11, s[0:1], s18, v7
	v_subbrev_co_u32_e64 v10, s[0:1], 0, v10, s[0:1]
	v_cmp_le_u32_e64 s[0:1], s19, v10
	v_cndmask_b32_e64 v12, 0, -1, s[0:1]
	v_cmp_le_u32_e64 s[0:1], s18, v11
	v_cndmask_b32_e64 v11, 0, -1, s[0:1]
	v_cmp_eq_u32_e64 s[0:1], s19, v10
	v_cndmask_b32_e64 v10, v12, v11, s[0:1]
	v_add_co_u32_e64 v11, s[0:1], 2, v4
	v_addc_co_u32_e64 v12, s[0:1], 0, v9, s[0:1]
	v_add_co_u32_e64 v13, s[0:1], 1, v4
	v_addc_co_u32_e64 v14, s[0:1], 0, v9, s[0:1]
	v_subb_co_u32_e32 v8, vcc, v6, v8, vcc
	v_cmp_ne_u32_e64 s[0:1], 0, v10
	v_cmp_le_u32_e32 vcc, s19, v8
	v_cndmask_b32_e64 v10, v14, v12, s[0:1]
	v_cndmask_b32_e64 v12, 0, -1, vcc
	v_cmp_le_u32_e32 vcc, s18, v7
	v_cndmask_b32_e64 v7, 0, -1, vcc
	v_cmp_eq_u32_e32 vcc, s19, v8
	v_cndmask_b32_e32 v7, v12, v7, vcc
	v_cmp_ne_u32_e32 vcc, 0, v7
	v_cndmask_b32_e64 v7, v13, v11, s[0:1]
	v_cndmask_b32_e32 v8, v9, v10, vcc
	v_cndmask_b32_e32 v7, v4, v7, vcc
.LBB0_4:                                ;   in Loop: Header=BB0_2 Depth=1
	s_andn2_saveexec_b64 s[0:1], s[20:21]
	s_cbranch_execz .LBB0_6
; %bb.5:                                ;   in Loop: Header=BB0_2 Depth=1
	v_cvt_f32_u32_e32 v4, s18
	s_sub_i32 s20, 0, s18
	v_rcp_iflag_f32_e32 v4, v4
	v_mul_f32_e32 v4, 0x4f7ffffe, v4
	v_cvt_u32_f32_e32 v4, v4
	v_mul_lo_u32 v7, s20, v4
	v_mul_hi_u32 v7, v4, v7
	v_add_u32_e32 v4, v4, v7
	v_mul_hi_u32 v4, v5, v4
	v_mul_lo_u32 v7, v4, s18
	v_add_u32_e32 v8, 1, v4
	v_sub_u32_e32 v7, v5, v7
	v_subrev_u32_e32 v9, s18, v7
	v_cmp_le_u32_e32 vcc, s18, v7
	v_cndmask_b32_e32 v7, v7, v9, vcc
	v_cndmask_b32_e32 v4, v4, v8, vcc
	v_add_u32_e32 v8, 1, v4
	v_cmp_le_u32_e32 vcc, s18, v7
	v_cndmask_b32_e32 v7, v4, v8, vcc
	v_mov_b32_e32 v8, v3
.LBB0_6:                                ;   in Loop: Header=BB0_2 Depth=1
	s_or_b64 exec, exec, s[0:1]
	v_mul_lo_u32 v4, v8, s18
	v_mul_lo_u32 v11, v7, s19
	v_mad_u64_u32 v[9:10], s[0:1], v7, s18, 0
	s_load_dwordx2 s[0:1], s[6:7], 0x0
	s_add_u32 s16, s16, 1
	v_add3_u32 v4, v10, v11, v4
	v_sub_co_u32_e32 v5, vcc, v5, v9
	v_subb_co_u32_e32 v4, vcc, v6, v4, vcc
	s_waitcnt lgkmcnt(0)
	v_mul_lo_u32 v4, s0, v4
	v_mul_lo_u32 v6, s1, v5
	v_mad_u64_u32 v[1:2], s[0:1], s0, v5, v[1:2]
	s_addc_u32 s17, s17, 0
	s_add_u32 s6, s6, 8
	v_add3_u32 v2, v6, v2, v4
	v_mov_b32_e32 v4, s10
	v_mov_b32_e32 v5, s11
	s_addc_u32 s7, s7, 0
	v_cmp_ge_u64_e32 vcc, s[16:17], v[4:5]
	s_add_u32 s14, s14, 8
	s_addc_u32 s15, s15, 0
	s_cbranch_vccnz .LBB0_9
; %bb.7:                                ;   in Loop: Header=BB0_2 Depth=1
	v_mov_b32_e32 v5, v7
	v_mov_b32_e32 v6, v8
	s_branch .LBB0_2
.LBB0_8:
	v_mov_b32_e32 v8, v6
	v_mov_b32_e32 v7, v5
.LBB0_9:
	s_lshl_b64 s[0:1], s[10:11], 3
	s_add_u32 s0, s12, s0
	s_addc_u32 s1, s13, s1
	s_load_dwordx2 s[6:7], s[0:1], 0x0
	s_load_dwordx2 s[10:11], s[4:5], 0x20
	s_waitcnt lgkmcnt(0)
	v_mad_u64_u32 v[1:2], s[0:1], s6, v7, v[1:2]
	v_mul_lo_u32 v3, s6, v8
	v_mul_lo_u32 v4, s7, v7
	s_mov_b32 s0, 0x1681682
	v_mul_hi_u32 v5, v0, s0
	v_cmp_gt_u64_e64 s[0:1], s[10:11], v[7:8]
	v_add3_u32 v2, v4, v2, v3
	v_lshlrev_b64 v[2:3], 2, v[1:2]
	v_mul_u32_u24_e32 v4, 0xb6, v5
	v_sub_u32_e32 v0, v0, v4
	s_and_saveexec_b64 s[4:5], s[0:1]
	s_cbranch_execz .LBB0_13
; %bb.10:
	v_mov_b32_e32 v1, 0
	v_mov_b32_e32 v4, s3
	v_add_co_u32_e32 v5, vcc, s2, v2
	v_lshlrev_b64 v[6:7], 2, v[0:1]
	v_addc_co_u32_e32 v4, vcc, v4, v3, vcc
	v_add_co_u32_e32 v6, vcc, v5, v6
	v_addc_co_u32_e32 v7, vcc, v4, v7, vcc
	s_movk_i32 s6, 0x1000
	v_add_co_u32_e32 v8, vcc, s6, v6
	v_addc_co_u32_e32 v9, vcc, 0, v7, vcc
	global_load_dword v10, v[6:7], off
	global_load_dword v11, v[6:7], off offset:728
	global_load_dword v12, v[6:7], off offset:1456
	;; [unrolled: 1-line block ×10, first 2 shown]
	s_movk_i32 s6, 0xb5
	v_lshl_add_u32 v6, v0, 2, 0
	v_cmp_eq_u32_e32 vcc, s6, v0
	v_add_u32_e32 v7, 0x500, v6
	v_add_u32_e32 v8, 0xb00, v6
	;; [unrolled: 1-line block ×4, first 2 shown]
	s_waitcnt vmcnt(9)
	ds_write2_b32 v6, v10, v11 offset1:182
	s_waitcnt vmcnt(7)
	ds_write2_b32 v7, v12, v13 offset0:44 offset1:226
	s_waitcnt vmcnt(5)
	ds_write2_b32 v8, v14, v15 offset0:24 offset1:206
	;; [unrolled: 2-line block ×4, first 2 shown]
	s_waitcnt vmcnt(0)
	ds_write_b32 v6, v20 offset:7280
	s_and_saveexec_b64 s[6:7], vcc
	s_cbranch_execz .LBB0_12
; %bb.11:
	v_add_co_u32_e32 v5, vcc, 0x1000, v5
	v_addc_co_u32_e32 v6, vcc, 0, v4, vcc
	global_load_dword v0, v[5:6], off offset:3912
	s_waitcnt vmcnt(0)
	ds_write_b32 v1, v0 offset:8008
	v_mov_b32_e32 v0, 0xb5
.LBB0_12:
	s_or_b64 exec, exec, s[6:7]
.LBB0_13:
	s_or_b64 exec, exec, s[4:5]
	v_lshlrev_b32_e32 v1, 2, v0
	v_add_u32_e32 v16, 0, v1
	s_waitcnt lgkmcnt(0)
	s_barrier
	v_sub_u32_e32 v6, 0, v1
	ds_read_u16 v9, v16
	ds_read_u16 v10, v6 offset:8008
	s_add_u32 s6, s8, 0x1f40
	s_addc_u32 s7, s9, 0
	v_cmp_ne_u32_e32 vcc, 0, v0
                                        ; implicit-def: $vgpr4_vgpr5
	s_waitcnt lgkmcnt(0)
	v_add_f16_e32 v7, v10, v9
	v_sub_f16_e32 v8, v9, v10
	s_and_saveexec_b64 s[4:5], vcc
	s_xor_b64 s[4:5], exec, s[4:5]
	s_cbranch_execz .LBB0_15
; %bb.14:
	v_mov_b32_e32 v1, 0
	v_lshlrev_b64 v[4:5], 2, v[0:1]
	v_mov_b32_e32 v7, s7
	v_add_co_u32_e32 v4, vcc, s6, v4
	v_addc_co_u32_e32 v5, vcc, v7, v5, vcc
	global_load_dword v4, v[4:5], off
	ds_read_u16 v5, v6 offset:8010
	ds_read_u16 v7, v16 offset:2
	v_add_f16_e32 v8, v10, v9
	v_sub_f16_e32 v9, v9, v10
	s_waitcnt lgkmcnt(0)
	v_add_f16_e32 v10, v5, v7
	v_sub_f16_e32 v5, v7, v5
	s_waitcnt vmcnt(0)
	v_lshrrev_b32_e32 v7, 16, v4
	v_fma_f16 v11, v9, v7, v8
	v_fma_f16 v12, v10, v7, v5
	v_fma_f16 v13, -v9, v7, v8
	v_fma_f16 v5, v10, v7, -v5
	v_fma_f16 v7, -v4, v10, v11
	v_fma_f16 v8, v9, v4, v12
	v_fma_f16 v10, v4, v10, v13
	;; [unrolled: 1-line block ×3, first 2 shown]
	v_pack_b32_f16 v4, v10, v4
	ds_write_b32 v6, v4 offset:8008
	v_mov_b32_e32 v5, v1
	v_mov_b32_e32 v4, v0
.LBB0_15:
	s_andn2_saveexec_b64 s[4:5], s[4:5]
	s_cbranch_execz .LBB0_17
; %bb.16:
	v_mov_b32_e32 v1, 0
	ds_read_b32 v4, v1 offset:4004
	s_mov_b32 s10, 0xc0004000
	s_waitcnt lgkmcnt(0)
	v_pk_mul_f16 v9, v4, s10
	v_mov_b32_e32 v4, 0
	v_mov_b32_e32 v5, 0
	ds_write_b32 v1, v9 offset:4004
.LBB0_17:
	s_or_b64 exec, exec, s[4:5]
	v_lshlrev_b64 v[4:5], 2, v[4:5]
	v_mov_b32_e32 v1, s7
	v_add_co_u32_e32 v4, vcc, s6, v4
	v_addc_co_u32_e32 v5, vcc, v1, v5, vcc
	global_load_dword v1, v[4:5], off offset:728
	global_load_dword v9, v[4:5], off offset:1456
	;; [unrolled: 1-line block ×4, first 2 shown]
	s_mov_b32 s4, 0x5040100
	v_perm_b32 v7, v8, v7, s4
	ds_write_b32 v16, v7
	ds_read_b32 v7, v16 offset:728
	ds_read_b32 v8, v6 offset:7280
	s_movk_i32 s4, 0x5b
	v_cmp_gt_u32_e32 vcc, s4, v0
	s_waitcnt lgkmcnt(0)
	v_add_f16_e32 v12, v7, v8
	v_add_f16_sdwa v13, v8, v7 dst_sel:DWORD dst_unused:UNUSED_PAD src0_sel:WORD_1 src1_sel:WORD_1
	v_sub_f16_e32 v14, v7, v8
	v_sub_f16_sdwa v7, v7, v8 dst_sel:DWORD dst_unused:UNUSED_PAD src0_sel:WORD_1 src1_sel:WORD_1
	s_waitcnt vmcnt(3)
	v_lshrrev_b32_e32 v8, 16, v1
	v_fma_f16 v15, v14, v8, v12
	v_fma_f16 v17, v13, v8, v7
	v_fma_f16 v12, -v14, v8, v12
	v_fma_f16 v7, v13, v8, -v7
	v_fma_f16 v8, -v1, v13, v15
	v_fma_f16 v15, v14, v1, v17
	v_fma_f16 v12, v1, v13, v12
	v_fma_f16 v1, v14, v1, v7
	v_pack_b32_f16 v7, v8, v15
	v_pack_b32_f16 v1, v12, v1
	ds_write_b32 v16, v7 offset:728
	ds_write_b32 v6, v1 offset:7280
	ds_read_b32 v1, v16 offset:1456
	ds_read_b32 v7, v6 offset:6552
	s_waitcnt vmcnt(2)
	v_lshrrev_b32_e32 v8, 16, v9
	s_waitcnt lgkmcnt(0)
	v_add_f16_e32 v12, v1, v7
	v_add_f16_sdwa v13, v7, v1 dst_sel:DWORD dst_unused:UNUSED_PAD src0_sel:WORD_1 src1_sel:WORD_1
	v_sub_f16_e32 v14, v1, v7
	v_sub_f16_sdwa v1, v1, v7 dst_sel:DWORD dst_unused:UNUSED_PAD src0_sel:WORD_1 src1_sel:WORD_1
	v_fma_f16 v7, v14, v8, v12
	v_fma_f16 v15, v13, v8, v1
	v_fma_f16 v12, -v14, v8, v12
	v_fma_f16 v1, v13, v8, -v1
	v_fma_f16 v7, -v9, v13, v7
	v_fma_f16 v8, v14, v9, v15
	v_fma_f16 v12, v9, v13, v12
	v_fma_f16 v1, v14, v9, v1
	v_pack_b32_f16 v7, v7, v8
	v_pack_b32_f16 v1, v12, v1
	ds_write_b32 v16, v7 offset:1456
	ds_write_b32 v6, v1 offset:6552
	ds_read_b32 v1, v16 offset:2184
	ds_read_b32 v7, v6 offset:5824
	s_waitcnt vmcnt(1)
	v_lshrrev_b32_e32 v8, 16, v10
	s_waitcnt lgkmcnt(0)
	v_add_f16_e32 v9, v1, v7
	v_add_f16_sdwa v12, v7, v1 dst_sel:DWORD dst_unused:UNUSED_PAD src0_sel:WORD_1 src1_sel:WORD_1
	v_sub_f16_e32 v13, v1, v7
	v_sub_f16_sdwa v1, v1, v7 dst_sel:DWORD dst_unused:UNUSED_PAD src0_sel:WORD_1 src1_sel:WORD_1
	;; [unrolled: 21-line block ×3, first 2 shown]
	v_fma_f16 v7, v12, v8, v9
	v_fma_f16 v13, v10, v8, v1
	v_fma_f16 v9, -v12, v8, v9
	v_fma_f16 v1, v10, v8, -v1
	v_fma_f16 v7, -v11, v10, v7
	v_fma_f16 v8, v12, v11, v13
	v_fma_f16 v9, v11, v10, v9
	;; [unrolled: 1-line block ×3, first 2 shown]
	v_pack_b32_f16 v7, v7, v8
	v_pack_b32_f16 v1, v9, v1
	ds_write_b32 v16, v7 offset:2912
	ds_write_b32 v6, v1 offset:5096
	s_and_saveexec_b64 s[4:5], vcc
	s_cbranch_execz .LBB0_19
; %bb.18:
	global_load_dword v1, v[4:5], off offset:3640
	ds_read_b32 v4, v16 offset:3640
	ds_read_b32 v5, v6 offset:4368
	s_waitcnt lgkmcnt(0)
	v_add_f16_e32 v7, v4, v5
	v_add_f16_sdwa v8, v5, v4 dst_sel:DWORD dst_unused:UNUSED_PAD src0_sel:WORD_1 src1_sel:WORD_1
	v_sub_f16_e32 v9, v4, v5
	v_sub_f16_sdwa v4, v4, v5 dst_sel:DWORD dst_unused:UNUSED_PAD src0_sel:WORD_1 src1_sel:WORD_1
	s_waitcnt vmcnt(0)
	v_lshrrev_b32_e32 v5, 16, v1
	v_fma_f16 v10, v9, v5, v7
	v_fma_f16 v11, v8, v5, v4
	v_fma_f16 v7, -v9, v5, v7
	v_fma_f16 v4, v8, v5, -v4
	v_fma_f16 v5, -v1, v8, v10
	v_fma_f16 v10, v9, v1, v11
	v_fma_f16 v7, v1, v8, v7
	;; [unrolled: 1-line block ×3, first 2 shown]
	v_pack_b32_f16 v4, v5, v10
	v_pack_b32_f16 v1, v7, v1
	ds_write_b32 v16, v4 offset:3640
	ds_write_b32 v6, v1 offset:4368
.LBB0_19:
	s_or_b64 exec, exec, s[4:5]
	v_add_u32_e32 v1, 0xb00, v16
	s_waitcnt lgkmcnt(0)
	s_barrier
	s_barrier
	ds_read2_b32 v[4:5], v1 offset0:24 offset1:206
	v_add_u32_e32 v1, 0x1a00, v16
	ds_read2_b32 v[6:7], v1 offset0:65 offset1:247
	ds_read2_b32 v[10:11], v16 offset1:182
	v_add_u32_e32 v1, 0xf00, v16
	ds_read2_b32 v[14:15], v1 offset0:41 offset1:223
	v_lshl_add_u32 v17, v0, 3, 0
	s_waitcnt lgkmcnt(2)
	v_pk_add_f16 v13, v5, v7 neg_lo:[0,1] neg_hi:[0,1]
	v_pk_fma_f16 v12, v5, 2.0, v13 op_sel_hi:[1,0,1] neg_lo:[0,0,1] neg_hi:[0,0,1]
	s_waitcnt lgkmcnt(1)
	v_lshrrev_b32_e32 v1, 16, v10
	s_waitcnt lgkmcnt(0)
	v_pk_add_f16 v5, v10, v14 neg_lo:[0,1] neg_hi:[0,1]
	v_lshrrev_b32_e32 v18, 16, v5
	v_pk_add_f16 v9, v4, v6 neg_lo:[0,1] neg_hi:[0,1]
	v_fma_f16 v1, v1, 2.0, -v18
	v_pk_fma_f16 v8, v4, 2.0, v9 op_sel_hi:[1,0,1] neg_lo:[0,0,1] neg_hi:[0,0,1]
	v_fma_f16 v4, v10, 2.0, -v5
	v_lshlrev_b32_e32 v1, 16, v1
	v_or_b32_sdwa v4, v1, v4 dst_sel:DWORD dst_unused:UNUSED_PAD src0_sel:DWORD src1_sel:WORD_0
	v_add_u32_e32 v1, 0x500, v16
	ds_read2_b32 v[19:20], v1 offset0:44 offset1:226
	v_add_u32_e32 v1, 0x1500, v16
	ds_read2_b32 v[21:22], v1 offset0:21 offset1:203
	v_pk_add_f16 v7, v11, v15 neg_lo:[0,1] neg_hi:[0,1]
	v_add_u32_e32 v1, 0xb6, v0
	v_pk_fma_f16 v6, v11, 2.0, v7 op_sel_hi:[1,0,1] neg_lo:[0,0,1] neg_hi:[0,0,1]
	v_lshl_add_u32 v23, v0, 2, v16
	s_waitcnt lgkmcnt(0)
	v_pk_add_f16 v11, v19, v21 neg_lo:[0,1] neg_hi:[0,1]
	v_pk_fma_f16 v10, v19, 2.0, v11 op_sel_hi:[1,0,1] neg_lo:[0,0,1] neg_hi:[0,0,1]
	v_pk_add_f16 v15, v20, v22 neg_lo:[0,1] neg_hi:[0,1]
	v_lshl_add_u32 v19, v1, 3, 0
	v_pk_fma_f16 v14, v20, 2.0, v15 op_sel_hi:[1,0,1] neg_lo:[0,0,1] neg_hi:[0,0,1]
	s_barrier
	v_add_u32_e32 v20, 0xb60, v17
	ds_write2_b32 v19, v6, v7 offset1:1
	v_add_u32_e32 v19, 0x1110, v17
	ds_write2_b32 v23, v4, v5 offset1:1
	ds_write2_b32 v20, v10, v11 offset1:1
	;; [unrolled: 1-line block ×3, first 2 shown]
	v_add_u32_e32 v19, 0x16c0, v17
	ds_write2_b32 v19, v8, v9 offset1:1
	s_and_saveexec_b64 s[4:5], vcc
	s_cbranch_execz .LBB0_21
; %bb.20:
	v_add_u32_e32 v17, 0x1c70, v17
	ds_write2_b32 v17, v12, v13 offset1:1
.LBB0_21:
	s_or_b64 exec, exec, s[4:5]
	s_movk_i32 s4, 0x9a
	v_cmp_gt_u32_e32 vcc, s4, v0
	v_lshrrev_b32_e32 v38, 16, v6
	v_lshrrev_b32_e32 v40, 16, v7
	;; [unrolled: 1-line block ×6, first 2 shown]
	s_waitcnt lgkmcnt(0)
	s_barrier
	s_waitcnt lgkmcnt(0)
                                        ; implicit-def: $vgpr22
                                        ; implicit-def: $vgpr21
	s_and_saveexec_b64 s[4:5], vcc
	s_cbranch_execz .LBB0_23
; %bb.22:
	v_add_u32_e32 v8, 0x900, v16
	v_add_u32_e32 v6, 0x400, v16
	ds_read2_b32 v[10:11], v8 offset0:40 offset1:194
	v_add_u32_e32 v8, 0xe00, v16
	ds_read2_b32 v[4:5], v16 offset1:154
	ds_read2_b32 v[6:7], v6 offset0:52 offset1:206
	ds_read2_b32 v[14:15], v8 offset0:28 offset1:182
	ds_read_b32 v21, v16 offset:7392
	v_add_u32_e32 v8, 0x1200, v16
	v_add_u32_e32 v12, 0x1800, v16
	ds_read2_b32 v[8:9], v8 offset0:80 offset1:234
	ds_read2_b32 v[12:13], v12 offset0:4 offset1:158
	s_waitcnt lgkmcnt(2)
	v_lshrrev_b32_e32 v22, 16, v21
	v_lshrrev_b32_e32 v18, 16, v5
	;; [unrolled: 1-line block ×8, first 2 shown]
.LBB0_23:
	s_or_b64 exec, exec, s[4:5]
	v_and_b32_e32 v17, 1, v0
	v_mul_u32_u24_e32 v19, 12, v17
	v_lshlrev_b32_e32 v19, 2, v19
	global_load_dwordx4 v[25:28], v19, s[8:9] offset:32
	global_load_dwordx4 v[33:36], v19, s[8:9] offset:16
	global_load_dwordx4 v[43:46], v19, s[8:9]
	s_waitcnt lgkmcnt(0)
	v_lshrrev_b32_e32 v24, 16, v13
	v_lshrrev_b32_e32 v23, 16, v12
	;; [unrolled: 1-line block ×4, first 2 shown]
	s_movk_i32 s5, 0x3b15
	s_mov_b32 s10, 0xb770
	s_movk_i32 s4, 0x388b
	s_mov_b32 s7, 0xba95
	s_mov_b32 s6, 0xb5ac
	;; [unrolled: 1-line block ×7, first 2 shown]
	s_movk_i32 s18, 0x394e
	s_mov_b32 s16, 0xb94e
	s_movk_i32 s19, 0x3770
	s_movk_i32 s14, 0x3bf1
	;; [unrolled: 1-line block ×3, first 2 shown]
	s_waitcnt vmcnt(0)
	s_barrier
	v_mul_f16_sdwa v20, v24, v27 dst_sel:DWORD dst_unused:UNUSED_PAD src0_sel:DWORD src1_sel:WORD_1
	v_mul_f16_sdwa v42, v13, v27 dst_sel:DWORD dst_unused:UNUSED_PAD src0_sel:DWORD src1_sel:WORD_1
	;; [unrolled: 1-line block ×12, first 2 shown]
	v_fma_f16 v20, v13, v27, v20
	v_fma_f16 v27, v24, v27, -v42
	v_fma_f16 v21, v21, v28, v47
	v_fma_f16 v28, v22, v28, -v48
	v_fma_f16 v42, v18, v43, -v65
	v_mul_f16_sdwa v49, v9, v25 dst_sel:DWORD dst_unused:UNUSED_PAD src0_sel:DWORD src1_sel:WORD_1
	v_mul_f16_sdwa v50, v29, v25 dst_sel:DWORD dst_unused:UNUSED_PAD src0_sel:DWORD src1_sel:WORD_1
	v_mul_f16_sdwa v51, v31, v34 dst_sel:DWORD dst_unused:UNUSED_PAD src0_sel:DWORD src1_sel:WORD_1
	v_mul_f16_sdwa v53, v14, v34 dst_sel:DWORD dst_unused:UNUSED_PAD src0_sel:DWORD src1_sel:WORD_1
	v_mul_f16_sdwa v55, v37, v36 dst_sel:DWORD dst_unused:UNUSED_PAD src0_sel:DWORD src1_sel:WORD_1
	v_mul_f16_sdwa v56, v8, v36 dst_sel:DWORD dst_unused:UNUSED_PAD src0_sel:DWORD src1_sel:WORD_1
	v_mul_f16_sdwa v57, v11, v33 dst_sel:DWORD dst_unused:UNUSED_PAD src0_sel:DWORD src1_sel:WORD_1
	v_mul_f16_sdwa v58, v30, v33 dst_sel:DWORD dst_unused:UNUSED_PAD src0_sel:DWORD src1_sel:WORD_1
	v_mul_f16_sdwa v59, v38, v44 dst_sel:DWORD dst_unused:UNUSED_PAD src0_sel:DWORD src1_sel:WORD_1
	v_mul_f16_sdwa v62, v7, v45 dst_sel:DWORD dst_unused:UNUSED_PAD src0_sel:DWORD src1_sel:WORD_1
	v_mul_f16_sdwa v63, v41, v46 dst_sel:DWORD dst_unused:UNUSED_PAD src0_sel:DWORD src1_sel:WORD_1
	v_mul_f16_sdwa v64, v10, v46 dst_sel:DWORD dst_unused:UNUSED_PAD src0_sel:DWORD src1_sel:WORD_1
	v_fma_f16 v19, v12, v26, v19
	v_fma_f16 v26, v23, v26, -v39
	v_fma_f16 v24, v15, v35, v52
	v_fma_f16 v35, v32, v35, -v54
	;; [unrolled: 2-line block ×3, first 2 shown]
	v_fma_f16 v38, v5, v43, v66
	v_sub_f16_e32 v5, v42, v28
	v_add_f16_e32 v7, v42, v28
	v_fma_f16 v29, v29, v25, -v49
	v_fma_f16 v22, v9, v25, v50
	v_fma_f16 v23, v14, v34, v51
	;; [unrolled: 1-line block ×3, first 2 shown]
	v_fma_f16 v34, v31, v34, -v53
	v_fma_f16 v36, v37, v36, -v56
	v_fma_f16 v37, v30, v33, -v57
	v_fma_f16 v30, v11, v33, v58
	v_fma_f16 v31, v6, v44, v59
	;; [unrolled: 1-line block ×3, first 2 shown]
	v_fma_f16 v41, v41, v46, -v64
	v_add_f16_e32 v74, v38, v21
	v_sub_f16_e32 v6, v39, v27
	v_sub_f16_e32 v75, v38, v21
	v_add_f16_e32 v8, v39, v27
	v_mul_f16_e32 v44, 0xb770, v5
	v_mul_f16_e32 v46, 0x3b15, v7
	v_fma_f16 v40, v40, v45, -v62
	v_add_f16_e32 v70, v31, v20
	v_sub_f16_e32 v72, v31, v20
	v_mul_f16_e32 v43, 0xba95, v6
	v_mul_f16_e32 v45, 0x388b, v8
	;; [unrolled: 1-line block ×3, first 2 shown]
	v_fma_f16 v9, v74, s5, -v44
	v_fma_f16 v11, v75, s10, v46
	v_mul_f16_e32 v48, 0xbb7b, v6
	v_mul_f16_e32 v49, 0x388b, v7
	v_fma_f16 v10, v70, s4, -v43
	v_fma_f16 v12, v72, s7, v45
	v_fma_f16 v13, v74, s4, -v47
	v_add_f16_e32 v9, v9, v4
	v_add_f16_sdwa v11, v11, v4 dst_sel:DWORD dst_unused:UNUSED_PAD src0_sel:DWORD src1_sel:WORD_1
	v_fma_f16 v14, v70, s6, -v48
	v_add_f16_e32 v13, v13, v4
	v_add_f16_e32 v9, v10, v9
	;; [unrolled: 1-line block ×3, first 2 shown]
	v_fma_f16 v12, v75, s7, v49
	v_mul_f16_e32 v50, 0xb5ac, v8
	v_add_f16_e32 v11, v14, v13
	v_add_f16_sdwa v12, v12, v4 dst_sel:DWORD dst_unused:UNUSED_PAD src0_sel:DWORD src1_sel:WORD_1
	v_fma_f16 v13, v72, s11, v50
	s_movk_i32 s10, 0x2fb7
	v_mul_f16_e32 v51, 0xbbf1, v5
	v_add_f16_e32 v12, v13, v12
	v_fma_f16 v13, v74, s10, -v51
	v_mul_f16_e32 v52, 0xb3a8, v6
	v_add_f16_e32 v13, v13, v4
	v_fma_f16 v14, v70, s13, -v52
	v_mul_f16_e32 v54, 0x2fb7, v7
	v_add_f16_e32 v13, v14, v13
	v_fma_f16 v14, v75, s17, v54
	v_mul_f16_e32 v55, 0xbbc4, v8
	v_add_f16_sdwa v14, v14, v4 dst_sel:DWORD dst_unused:UNUSED_PAD src0_sel:DWORD src1_sel:WORD_1
	v_fma_f16 v15, v72, s15, v55
	v_mul_f16_e32 v57, 0xbb7b, v5
	v_add_f16_e32 v14, v15, v14
	v_fma_f16 v15, v74, s6, -v57
	v_mul_f16_e32 v58, 0x394e, v6
	v_add_f16_e32 v15, v15, v4
	v_fma_f16 v18, v70, s12, -v58
	v_mul_f16_e32 v60, 0xb5ac, v7
	v_add_f16_e32 v15, v18, v15
	v_fma_f16 v18, v75, s11, v60
	v_mul_f16_e32 v61, 0xb9fd, v8
	v_mul_f16_e32 v79, 0xb3a8, v5
	v_add_f16_sdwa v18, v18, v4 dst_sel:DWORD dst_unused:UNUSED_PAD src0_sel:DWORD src1_sel:WORD_1
	v_fma_f16 v53, v72, s18, v61
	v_mul_f16_e32 v64, 0xb94e, v5
	v_fma_f16 v5, v74, s13, -v79
	v_mul_f16_e32 v80, 0x3770, v6
	v_add_f16_e32 v18, v53, v18
	v_fma_f16 v53, v74, s12, -v64
	v_mul_f16_e32 v67, 0x3bf1, v6
	v_add_f16_e32 v5, v5, v4
	;; [unrolled: 3-line block ×4, first 2 shown]
	v_fma_f16 v6, v75, s15, v84
	v_mul_f16_e32 v85, 0x3b15, v8
	v_add_f16_e32 v62, v56, v53
	v_fma_f16 v53, v75, s16, v71
	v_mul_f16_e32 v73, 0x2fb7, v8
	v_add_f16_sdwa v6, v6, v4 dst_sel:DWORD dst_unused:UNUSED_PAD src0_sel:DWORD src1_sel:WORD_1
	v_fma_f16 v7, v72, s19, v85
	v_add_f16_sdwa v53, v53, v4 dst_sel:DWORD dst_unused:UNUSED_PAD src0_sel:DWORD src1_sel:WORD_1
	v_fma_f16 v56, v72, s14, v73
	v_add_f16_e32 v6, v7, v6
	v_sub_f16_e32 v7, v40, v26
	v_add_f16_e32 v66, v56, v53
	v_add_f16_e32 v97, v32, v19
	v_mul_f16_e32 v53, 0xbbf1, v7
	v_fma_f16 v8, v97, s10, -v53
	v_add_f16_e32 v8, v8, v9
	v_add_f16_e32 v9, v40, v26
	v_sub_f16_e32 v102, v32, v19
	v_mul_f16_e32 v56, 0x2fb7, v9
	v_fma_f16 v59, v102, s17, v56
	v_add_f16_e32 v10, v59, v10
	v_mul_f16_e32 v59, 0xb3a8, v7
	v_fma_f16 v63, v97, s13, -v59
	v_add_f16_e32 v11, v63, v11
	v_mul_f16_e32 v63, 0xbbc4, v9
	v_fma_f16 v65, v102, s15, v63
	v_add_f16_e32 v12, v65, v12
	v_mul_f16_e32 v65, 0x3b7b, v7
	v_fma_f16 v68, v97, s6, -v65
	v_mul_f16_e32 v69, 0xb5ac, v9
	v_add_f16_e32 v13, v68, v13
	v_fma_f16 v68, v102, s20, v69
	v_mul_f16_e32 v76, 0x3770, v7
	v_add_f16_e32 v14, v68, v14
	v_fma_f16 v68, v97, s5, -v76
	v_mul_f16_e32 v82, 0x3b15, v9
	v_mul_f16_e32 v93, 0xb94e, v7
	v_add_f16_e32 v15, v68, v15
	v_fma_f16 v68, v102, s19, v82
	v_mul_f16_e32 v86, 0xba95, v7
	v_fma_f16 v7, v97, s12, -v93
	v_mul_f16_e32 v98, 0xb9fd, v9
	v_add_f16_e32 v18, v68, v18
	v_fma_f16 v68, v97, s4, -v86
	v_mul_f16_e32 v90, 0x388b, v9
	v_add_f16_e32 v5, v7, v5
	v_fma_f16 v7, v102, s16, v98
	v_add_f16_e32 v78, v68, v62
	v_fma_f16 v62, v102, s7, v90
	v_add_f16_e32 v6, v7, v6
	v_sub_f16_e32 v7, v41, v29
	v_add_f16_e32 v83, v62, v66
	v_add_f16_e32 v108, v33, v22
	v_mul_f16_e32 v62, 0xbb7b, v7
	v_fma_f16 v9, v108, s6, -v62
	v_add_f16_e32 v8, v9, v8
	v_add_f16_e32 v9, v41, v29
	v_sub_f16_e32 v110, v33, v22
	v_mul_f16_e32 v66, 0xb5ac, v9
	v_fma_f16 v68, v110, s11, v66
	v_add_f16_e32 v10, v68, v10
	v_mul_f16_e32 v68, 0x394e, v7
	v_fma_f16 v77, v108, s12, -v68
	v_add_f16_e32 v11, v77, v11
	v_mul_f16_e32 v77, 0xb9fd, v9
	v_fma_f16 v81, v110, s18, v77
	v_add_f16_e32 v12, v81, v12
	v_mul_f16_e32 v81, 0x3770, v7
	v_fma_f16 v87, v108, s5, -v81
	v_add_f16_e32 v13, v87, v13
	v_mul_f16_e32 v87, 0x3b15, v9
	v_fma_f16 v88, v110, s19, v87
	v_mul_f16_e32 v89, 0xbbf1, v7
	v_add_f16_e32 v14, v88, v14
	v_fma_f16 v88, v108, s10, -v89
	v_mul_f16_e32 v94, 0x2fb7, v9
	v_mul_f16_e32 v106, 0x3a95, v7
	v_add_f16_e32 v15, v88, v15
	v_fma_f16 v88, v110, s17, v94
	v_mul_f16_e32 v99, 0x33a8, v7
	v_fma_f16 v7, v108, s4, -v106
	s_movk_i32 s18, 0x3a95
	v_mul_f16_e32 v113, 0x388b, v9
	v_add_f16_e32 v18, v88, v18
	v_fma_f16 v88, v108, s13, -v99
	s_movk_i32 s17, 0x33a8
	v_mul_f16_e32 v103, 0xbbc4, v9
	v_add_f16_e32 v5, v7, v5
	v_fma_f16 v7, v110, s18, v113
	v_add_f16_e32 v91, v88, v78
	v_fma_f16 v78, v110, s17, v103
	v_add_f16_e32 v6, v7, v6
	v_sub_f16_e32 v7, v37, v36
	v_add_f16_e32 v96, v78, v83
	v_add_f16_e32 v116, v30, v25
	v_mul_f16_e32 v78, 0xb94e, v7
	v_fma_f16 v9, v116, s12, -v78
	v_add_f16_e32 v8, v9, v8
	v_add_f16_e32 v9, v37, v36
	v_sub_f16_e32 v119, v30, v25
	v_mul_f16_e32 v83, 0xb9fd, v9
	v_fma_f16 v88, v119, s16, v83
	v_add_f16_e32 v10, v88, v10
	v_mul_f16_e32 v88, 0x3bf1, v7
	v_fma_f16 v92, v116, s10, -v88
	v_add_f16_e32 v11, v92, v11
	v_mul_f16_e32 v92, 0x2fb7, v9
	v_fma_f16 v95, v119, s14, v92
	v_add_f16_e32 v12, v95, v12
	v_mul_f16_e32 v95, 0xba95, v7
	v_fma_f16 v100, v116, s4, -v95
	v_mul_f16_e32 v101, 0x388b, v9
	v_add_f16_e32 v13, v100, v13
	v_fma_f16 v100, v119, s7, v101
	v_mul_f16_e32 v104, 0x33a8, v7
	v_add_f16_e32 v14, v100, v14
	v_fma_f16 v100, v116, s13, -v104
	v_mul_f16_e32 v109, 0xbbc4, v9
	v_add_f16_e32 v15, v100, v15
	v_fma_f16 v100, v119, s17, v109
	v_mul_f16_e32 v111, 0x3770, v7
	v_add_f16_e32 v18, v100, v18
	v_fma_f16 v100, v116, s5, -v111
	v_mul_f16_e32 v115, 0x3b15, v9
	v_mul_f16_e32 v117, 0xbb7b, v7
	v_add_f16_e32 v123, v100, v91
	v_fma_f16 v91, v119, s19, v115
	v_fma_f16 v7, v116, s6, -v117
	v_mul_f16_e32 v121, 0xb5ac, v9
	v_sub_f16_e32 v126, v34, v35
	v_add_f16_e32 v125, v91, v96
	v_add_f16_e32 v5, v7, v5
	v_fma_f16 v7, v119, s11, v121
	v_add_f16_e32 v122, v23, v24
	v_mul_f16_e32 v91, 0xb3a8, v126
	v_add_f16_e32 v127, v34, v35
	v_add_f16_e32 v6, v7, v6
	v_fma_f16 v7, v122, s13, -v91
	v_sub_f16_e32 v124, v23, v24
	v_mul_f16_e32 v96, 0xbbc4, v127
	v_add_f16_e32 v7, v7, v8
	v_fma_f16 v8, v124, s15, v96
	v_mul_f16_e32 v100, 0x3770, v126
	v_mul_f16_e32 v105, 0x3b15, v127
	v_add_f16_e32 v10, v8, v10
	v_fma_f16 v8, v122, s5, -v100
	v_fma_f16 v9, v124, s19, v105
	v_mul_f16_e32 v107, 0xb94e, v126
	v_add_f16_e32 v8, v8, v11
	v_add_f16_e32 v11, v9, v12
	v_fma_f16 v9, v122, s12, -v107
	v_mul_f16_e32 v114, 0x3a95, v126
	v_add_f16_e32 v9, v9, v13
	v_mul_f16_e32 v112, 0xb9fd, v127
	v_fma_f16 v13, v122, s4, -v114
	v_mul_f16_e32 v118, 0x388b, v127
	v_fma_f16 v12, v124, s16, v112
	v_add_f16_e32 v15, v13, v15
	v_fma_f16 v13, v124, s18, v118
	v_mul_f16_e32 v120, 0xbb7b, v126
	v_add_f16_e32 v12, v12, v14
	v_add_f16_e32 v14, v13, v18
	v_fma_f16 v13, v122, s6, -v120
	v_add_f16_e32 v13, v13, v123
	v_mul_f16_e32 v123, 0xb5ac, v127
	v_fma_f16 v18, v124, s11, v123
	v_add_f16_e32 v18, v18, v125
	v_mul_f16_e32 v125, 0x3bf1, v126
	v_fma_f16 v126, v122, s10, -v125
	v_add_f16_e32 v5, v126, v5
	v_mul_f16_e32 v126, 0x2fb7, v127
	v_fma_f16 v127, v124, s14, v126
	v_add_f16_e32 v6, v127, v6
	s_and_saveexec_b64 s[4:5], vcc
	s_cbranch_execz .LBB0_25
; %bb.24:
	v_mul_f16_e32 v127, 0x3b15, v74
	v_mul_f16_e32 v128, 0xb770, v75
	;; [unrolled: 1-line block ×12, first 2 shown]
	v_sub_f16_e32 v75, v84, v75
	v_add_f16_e32 v74, v74, v79
	v_sub_f16_e32 v71, v71, v136
	v_add_f16_e32 v64, v135, v64
	;; [unrolled: 2-line block ×6, first 2 shown]
	v_add_f16_sdwa v75, v75, v4 dst_sel:DWORD dst_unused:UNUSED_PAD src0_sel:DWORD src1_sel:WORD_1
	v_add_f16_e32 v74, v74, v4
	v_add_f16_sdwa v71, v71, v4 dst_sel:DWORD dst_unused:UNUSED_PAD src0_sel:DWORD src1_sel:WORD_1
	v_add_f16_e32 v64, v64, v4
	;; [unrolled: 2-line block ×7, first 2 shown]
	v_add_f16_e32 v39, v42, v39
	v_add_f16_e32 v4, v4, v31
	;; [unrolled: 1-line block ×8, first 2 shown]
	v_mul_f16_e32 v137, 0x388b, v70
	v_mul_f16_e32 v138, 0xba95, v72
	v_add_f16_e32 v34, v37, v34
	v_add_f16_e32 v4, v4, v23
	v_mul_f16_e32 v139, 0xb5ac, v70
	v_mul_f16_e32 v140, 0xbb7b, v72
	v_mul_f16_e32 v141, 0xbbc4, v70
	v_mul_f16_e32 v142, 0xb3a8, v72
	v_mul_f16_e32 v147, 0x2fb7, v97
	v_mul_f16_e32 v148, 0xbbf1, v102
	v_sub_f16_e32 v45, v45, v138
	v_add_f16_e32 v43, v137, v43
	v_add_f16_e32 v34, v34, v35
	;; [unrolled: 1-line block ×3, first 2 shown]
	v_mul_f16_e32 v143, 0xb9fd, v70
	v_mul_f16_e32 v144, 0x394e, v72
	;; [unrolled: 1-line block ×10, first 2 shown]
	v_sub_f16_e32 v55, v55, v142
	v_add_f16_e32 v52, v141, v52
	v_sub_f16_e32 v50, v50, v140
	v_add_f16_e32 v48, v139, v48
	v_add_f16_e32 v45, v45, v46
	v_sub_f16_e32 v46, v56, v148
	v_add_f16_e32 v43, v43, v44
	v_add_f16_e32 v44, v147, v53
	;; [unrolled: 1-line block ×4, first 2 shown]
	v_mul_f16_e32 v70, 0x3b15, v70
	v_mul_f16_e32 v72, 0x3770, v72
	;; [unrolled: 1-line block ×12, first 2 shown]
	v_sub_f16_e32 v73, v73, v146
	v_add_f16_e32 v67, v145, v67
	v_sub_f16_e32 v61, v61, v144
	v_add_f16_e32 v58, v143, v58
	v_add_f16_e32 v54, v55, v54
	v_sub_f16_e32 v55, v69, v152
	v_add_f16_e32 v51, v52, v51
	v_add_f16_e32 v52, v151, v65
	v_add_f16_e32 v49, v50, v49
	v_sub_f16_e32 v50, v63, v150
	v_add_f16_e32 v47, v48, v47
	;; [unrolled: 4-line block ×3, first 2 shown]
	v_add_f16_e32 v44, v157, v62
	v_add_f16_e32 v29, v34, v29
	;; [unrolled: 1-line block ×3, first 2 shown]
	v_mul_f16_e32 v97, 0xb9fd, v97
	v_mul_f16_e32 v102, 0xb94e, v102
	;; [unrolled: 1-line block ×12, first 2 shown]
	v_sub_f16_e32 v72, v85, v72
	v_add_f16_e32 v70, v70, v80
	v_add_f16_e32 v71, v73, v71
	v_sub_f16_e32 v73, v90, v156
	v_add_f16_e32 v64, v67, v64
	v_add_f16_e32 v67, v155, v86
	v_add_f16_e32 v60, v61, v60
	v_sub_f16_e32 v61, v82, v154
	v_add_f16_e32 v57, v58, v57
	;; [unrolled: 4-line block ×5, first 2 shown]
	v_add_f16_e32 v44, v167, v78
	v_add_f16_e32 v26, v29, v26
	;; [unrolled: 1-line block ×3, first 2 shown]
	v_lshrrev_b32_e32 v19, 1, v0
	v_mul_f16_e32 v108, 0x388b, v108
	v_mul_f16_e32 v110, 0x3a95, v110
	v_mul_f16_e32 v173, 0xbbc4, v116
	v_mul_f16_e32 v174, 0x33a8, v119
	v_mul_f16_e32 v175, 0x3b15, v116
	v_mul_f16_e32 v176, 0x3770, v119
	v_mul_f16_e32 v179, 0x3b15, v122
	v_mul_f16_e32 v180, 0x3770, v124
	v_mul_f16_e32 v181, 0xb9fd, v122
	v_mul_f16_e32 v182, 0xb94e, v124
	v_add_f16_e32 v72, v72, v75
	v_sub_f16_e32 v75, v98, v102
	v_add_f16_e32 v70, v70, v74
	v_add_f16_e32 v74, v97, v93
	v_add_f16_e32 v71, v73, v71
	v_sub_f16_e32 v73, v103, v166
	v_add_f16_e32 v64, v67, v64
	v_add_f16_e32 v67, v165, v99
	;; [unrolled: 4-line block ×6, first 2 shown]
	v_add_f16_e32 v26, v26, v27
	v_add_f16_e32 v4, v4, v20
	v_mul_u32_u24_e32 v19, 26, v19
	v_mul_f16_e32 v116, 0xb5ac, v116
	v_mul_f16_e32 v119, 0xbb7b, v119
	;; [unrolled: 1-line block ×6, first 2 shown]
	v_add_f16_e32 v72, v75, v72
	v_sub_f16_e32 v75, v113, v110
	v_add_f16_e32 v70, v74, v70
	v_add_f16_e32 v74, v108, v106
	v_add_f16_e32 v71, v73, v71
	v_sub_f16_e32 v73, v115, v176
	v_add_f16_e32 v64, v67, v64
	v_add_f16_e32 v67, v175, v111
	;; [unrolled: 4-line block ×5, first 2 shown]
	v_add_f16_e32 v45, v46, v45
	v_add_f16_e32 v43, v44, v43
	v_add_f16_sdwa v26, v26, v28 dst_sel:WORD_1 dst_unused:UNUSED_PAD src0_sel:DWORD src1_sel:DWORD
	v_add_f16_e32 v4, v4, v21
	v_or_b32_e32 v17, v19, v17
	v_mul_f16_e32 v122, 0x2fb7, v122
	v_mul_f16_e32 v124, 0x3bf1, v124
	v_add_f16_e32 v72, v75, v72
	v_sub_f16_e32 v75, v121, v119
	v_add_f16_e32 v70, v74, v70
	v_add_f16_e32 v74, v116, v117
	v_add_f16_e32 v71, v73, v71
	v_sub_f16_e32 v73, v123, v186
	v_add_f16_e32 v64, v67, v64
	v_add_f16_e32 v67, v185, v120
	;; [unrolled: 4-line block ×3, first 2 shown]
	v_add_f16_e32 v54, v55, v54
	v_add_f16_e32 v51, v52, v51
	;; [unrolled: 1-line block ×4, first 2 shown]
	v_or_b32_e32 v4, v26, v4
	v_lshl_add_u32 v17, v17, 2, 0
	v_pack_b32_f16 v19, v43, v45
	v_add_f16_e32 v72, v75, v72
	v_sub_f16_e32 v75, v126, v124
	v_add_f16_e32 v70, v74, v70
	v_add_f16_e32 v74, v122, v125
	v_add_f16_e32 v71, v73, v71
	v_add_f16_e32 v64, v67, v64
	v_add_f16_e32 v60, v61, v60
	v_add_f16_e32 v57, v58, v57
	ds_write2_b32 v17, v4, v19 offset1:2
	v_pack_b32_f16 v4, v47, v49
	v_pack_b32_f16 v19, v51, v54
	v_add_f16_e32 v72, v75, v72
	v_add_f16_e32 v70, v74, v70
	ds_write2_b32 v17, v4, v19 offset0:4 offset1:6
	v_pack_b32_f16 v4, v57, v60
	v_pack_b32_f16 v19, v64, v71
	s_mov_b32 s6, 0x5040100
	ds_write2_b32 v17, v4, v19 offset0:8 offset1:10
	v_pack_b32_f16 v4, v70, v72
	v_perm_b32 v19, v6, v5, s6
	ds_write2_b32 v17, v4, v19 offset0:12 offset1:14
	v_perm_b32 v4, v18, v13, s6
	v_perm_b32 v19, v14, v15, s6
	ds_write2_b32 v17, v4, v19 offset0:16 offset1:18
	v_perm_b32 v4, v12, v9, s6
	;; [unrolled: 3-line block ×3, first 2 shown]
	ds_write_b32 v17, v4 offset:96
.LBB0_25:
	s_or_b64 exec, exec, s[4:5]
	s_waitcnt lgkmcnt(0)
	s_barrier
	ds_read_b32 v19, v16
	ds_read_b32 v25, v16 offset:1144
	ds_read_b32 v24, v16 offset:2288
	ds_read_b32 v23, v16 offset:3432
	ds_read_b32 v22, v16 offset:4576
	ds_read_b32 v21, v16 offset:5720
	ds_read_b32 v20, v16 offset:6864
	s_movk_i32 s4, 0x68
	v_cmp_gt_u32_e32 vcc, s4, v0
                                        ; implicit-def: $vgpr17
                                        ; implicit-def: $vgpr4
	s_and_saveexec_b64 s[4:5], vcc
	s_cbranch_execz .LBB0_27
; %bb.26:
	ds_read_b32 v5, v16 offset:728
	ds_read_b32 v13, v16 offset:1872
	;; [unrolled: 1-line block ×6, first 2 shown]
	ds_read_u16 v14, v16 offset:3018
	ds_read_b32 v15, v16 offset:3016
	s_waitcnt lgkmcnt(7)
	v_lshrrev_b32_e32 v6, 16, v5
	s_waitcnt lgkmcnt(5)
	v_lshrrev_b32_e32 v12, 16, v9
	;; [unrolled: 2-line block ×5, first 2 shown]
	v_lshrrev_b32_e32 v18, 16, v13
.LBB0_27:
	s_or_b64 exec, exec, s[4:5]
	s_movk_i32 s4, 0x4f
	v_mul_lo_u16_sdwa v26, v0, s4 dst_sel:DWORD dst_unused:UNUSED_PAD src0_sel:BYTE_0 src1_sel:DWORD
	v_lshrrev_b16_e32 v32, 11, v26
	v_mul_lo_u16_e32 v26, 26, v32
	v_sub_u16_e32 v33, v0, v26
	v_mov_b32_e32 v26, 6
	v_mul_u32_u24_sdwa v26, v33, v26 dst_sel:DWORD dst_unused:UNUSED_PAD src0_sel:BYTE_0 src1_sel:DWORD
	v_lshlrev_b32_e32 v34, 2, v26
	global_load_dwordx4 v[26:29], v34, s[8:9] offset:96
	global_load_dwordx2 v[30:31], v34, s[8:9] offset:112
	s_waitcnt lgkmcnt(5)
	v_lshrrev_b32_e32 v34, 16, v25
	s_waitcnt lgkmcnt(4)
	v_lshrrev_b32_e32 v35, 16, v24
	;; [unrolled: 2-line block ×4, first 2 shown]
	v_lshrrev_b32_e32 v36, 16, v23
	v_lshrrev_b32_e32 v37, 16, v22
	s_movk_i32 s11, 0x2b26
	s_mov_b32 s6, 0xbb00
	s_mov_b32 s10, 0xbcab
	s_movk_i32 s7, 0x39e0
	s_mov_b32 s12, 0xb9e0
	s_mov_b32 s14, 0xb574
	s_movk_i32 s15, 0x3574
	s_mov_b32 s13, 0xb70e
	s_waitcnt vmcnt(0)
	s_barrier
	v_mul_f16_sdwa v40, v26, v34 dst_sel:DWORD dst_unused:UNUSED_PAD src0_sel:WORD_1 src1_sel:DWORD
	v_mul_f16_sdwa v41, v26, v25 dst_sel:DWORD dst_unused:UNUSED_PAD src0_sel:WORD_1 src1_sel:DWORD
	;; [unrolled: 1-line block ×12, first 2 shown]
	v_fma_f16 v25, v26, v25, v40
	v_fma_f16 v26, v26, v34, -v41
	v_fma_f16 v24, v27, v24, v42
	v_fma_f16 v27, v27, v35, -v43
	;; [unrolled: 2-line block ×6, first 2 shown]
	v_add_f16_e32 v34, v25, v20
	v_add_f16_e32 v35, v26, v31
	v_sub_f16_e32 v20, v25, v20
	v_sub_f16_e32 v25, v26, v31
	v_add_f16_e32 v26, v24, v21
	v_add_f16_e32 v31, v27, v30
	v_sub_f16_e32 v21, v24, v21
	v_sub_f16_e32 v24, v27, v30
	;; [unrolled: 4-line block ×4, first 2 shown]
	v_sub_f16_e32 v34, v34, v27
	v_sub_f16_e32 v35, v35, v30
	;; [unrolled: 1-line block ×4, first 2 shown]
	v_add_f16_e32 v38, v22, v21
	v_add_f16_e32 v39, v23, v24
	v_sub_f16_e32 v40, v22, v21
	v_sub_f16_e32 v41, v23, v24
	;; [unrolled: 1-line block ×3, first 2 shown]
	v_add_f16_e32 v27, v27, v28
	v_add_f16_e32 v28, v30, v29
	v_sub_f16_e32 v22, v20, v22
	v_sub_f16_e32 v23, v25, v23
	;; [unrolled: 1-line block ×3, first 2 shown]
	v_add_f16_e32 v20, v38, v20
	v_add_f16_e32 v25, v39, v25
	v_mul_f16_e32 v29, 0x3a52, v34
	v_mul_f16_e32 v30, 0x3a52, v35
	;; [unrolled: 1-line block ×7, first 2 shown]
	v_add_f16_e32 v42, v27, v19
	v_add_f16_sdwa v19, v28, v19 dst_sel:DWORD dst_unused:UNUSED_PAD src0_sel:DWORD src1_sel:WORD_1
	v_mul_f16_e32 v41, 0xbb00, v24
	v_fma_f16 v26, v26, s11, v29
	v_fma_f16 v31, v31, s11, v30
	v_fma_f16 v34, v36, s7, -v34
	v_fma_f16 v35, v37, s7, -v35
	v_lshlrev_b32_e32 v43, 16, v19
	v_fma_f16 v27, v27, s10, v42
	v_fma_f16 v19, v28, s10, v19
	v_fma_f16 v29, v36, s12, -v29
	v_fma_f16 v30, v37, s12, -v30
	v_fma_f16 v36, v22, s14, v38
	v_fma_f16 v37, v23, s14, v39
	v_fma_f16 v21, v21, s6, -v38
	v_fma_f16 v22, v22, s15, -v40
	;; [unrolled: 1-line block ×4, first 2 shown]
	v_add_f16_e32 v26, v26, v27
	v_add_f16_e32 v31, v31, v19
	;; [unrolled: 1-line block ×6, first 2 shown]
	v_fma_f16 v29, v20, s13, v36
	v_fma_f16 v30, v25, s13, v37
	v_fma_f16 v21, v20, s13, v21
	v_fma_f16 v20, v20, s13, v22
	v_fma_f16 v24, v25, s13, v24
	v_fma_f16 v22, v25, s13, v23
	v_add_f16_e32 v23, v30, v26
	v_sub_f16_e32 v25, v31, v29
	v_sub_f16_e32 v37, v19, v20
	v_add_f16_e32 v19, v20, v19
	v_sub_f16_e32 v20, v26, v30
	v_add_f16_e32 v26, v29, v31
	v_mov_b32_e32 v29, 2
	v_add_f16_e32 v36, v22, v27
	v_sub_f16_e32 v38, v34, v24
	v_add_f16_e32 v39, v21, v35
	v_add_f16_e32 v24, v24, v34
	v_sub_f16_e32 v21, v35, v21
	v_sub_f16_e32 v22, v27, v22
	v_mul_u32_u24_e32 v27, 0x2d8, v32
	v_lshlrev_b32_sdwa v29, v29, v33 dst_sel:DWORD dst_unused:UNUSED_PAD src0_sel:DWORD src1_sel:BYTE_0
	v_or_b32_e32 v28, v43, v42
	v_add3_u32 v27, 0, v27, v29
	v_pack_b32_f16 v23, v23, v25
	v_pack_b32_f16 v21, v24, v21
	;; [unrolled: 1-line block ×3, first 2 shown]
	ds_write2_b32 v27, v28, v23 offset1:26
	v_pack_b32_f16 v23, v36, v37
	v_pack_b32_f16 v25, v38, v39
	ds_write2_b32 v27, v21, v19 offset0:104 offset1:130
	v_pack_b32_f16 v19, v20, v26
	ds_write2_b32 v27, v23, v25 offset0:52 offset1:78
	ds_write_b32 v27, v19 offset:624
	s_and_saveexec_b64 s[4:5], vcc
	s_cbranch_execz .LBB0_29
; %bb.28:
	s_movk_i32 s16, 0x4ec5
	v_mul_u32_u24_sdwa v19, v1, s16 dst_sel:DWORD dst_unused:UNUSED_PAD src0_sel:WORD_0 src1_sel:DWORD
	v_lshrrev_b32_e32 v25, 19, v19
	v_mul_lo_u16_e32 v19, 26, v25
	v_sub_u16_e32 v1, v1, v19
	v_mul_u32_u24_e32 v19, 6, v1
	v_lshlrev_b32_e32 v26, 2, v19
	global_load_dwordx4 v[19:22], v26, s[8:9] offset:96
	global_load_dwordx2 v[23:24], v26, s[8:9] offset:112
	v_lshlrev_b32_e32 v1, 2, v1
	s_waitcnt vmcnt(1)
	v_mul_f16_sdwa v26, v18, v19 dst_sel:DWORD dst_unused:UNUSED_PAD src0_sel:DWORD src1_sel:WORD_1
	s_waitcnt vmcnt(0)
	v_mul_f16_sdwa v27, v17, v24 dst_sel:DWORD dst_unused:UNUSED_PAD src0_sel:DWORD src1_sel:WORD_1
	v_mul_f16_sdwa v30, v14, v20 dst_sel:DWORD dst_unused:UNUSED_PAD src0_sel:DWORD src1_sel:WORD_1
	;; [unrolled: 1-line block ×11, first 2 shown]
	v_fma_f16 v13, v13, v19, v26
	v_fma_f16 v4, v4, v24, v27
	;; [unrolled: 1-line block ×4, first 2 shown]
	v_fma_f16 v17, v17, v24, -v32
	v_fma_f16 v18, v18, v19, -v33
	v_fma_f16 v10, v10, v23, -v36
	v_fma_f16 v14, v14, v20, -v37
	v_fma_f16 v8, v8, v22, v28
	v_fma_f16 v9, v9, v21, v29
	v_fma_f16 v12, v12, v21, -v34
	v_fma_f16 v11, v11, v22, -v35
	v_sub_f16_e32 v19, v13, v4
	v_sub_f16_e32 v21, v15, v7
	v_add_f16_e32 v22, v18, v17
	v_add_f16_e32 v24, v14, v10
	;; [unrolled: 1-line block ×4, first 2 shown]
	v_sub_f16_e32 v20, v8, v9
	v_add_f16_e32 v23, v12, v11
	v_add_f16_e32 v8, v9, v8
	v_sub_f16_e32 v9, v18, v17
	v_sub_f16_e32 v11, v11, v12
	;; [unrolled: 1-line block ×3, first 2 shown]
	v_add_f16_e32 v18, v24, v22
	v_add_f16_e32 v27, v7, v4
	v_sub_f16_e32 v12, v19, v20
	v_sub_f16_e32 v13, v20, v21
	v_add_f16_e32 v14, v20, v21
	v_sub_f16_e32 v15, v22, v23
	v_sub_f16_e32 v17, v23, v24
	;; [unrolled: 1-line block ×6, first 2 shown]
	v_add_f16_e32 v11, v11, v10
	v_sub_f16_e32 v21, v21, v19
	v_sub_f16_e32 v4, v7, v4
	;; [unrolled: 1-line block ×3, first 2 shown]
	v_add_f16_e32 v18, v23, v18
	v_add_f16_e32 v8, v8, v27
	v_sub_f16_e32 v22, v24, v22
	v_mul_f16_e32 v10, 0x3846, v13
	v_add_f16_e32 v13, v14, v19
	v_mul_f16_e32 v14, 0x3a52, v15
	v_mul_f16_e32 v15, 0x2b26, v17
	;; [unrolled: 1-line block ×3, first 2 shown]
	v_add_f16_e32 v9, v11, v9
	v_mul_f16_e32 v11, 0xbb00, v21
	v_mul_f16_e32 v24, 0xbb00, v7
	v_add_f16_e32 v6, v6, v18
	v_add_f16_e32 v5, v5, v8
	v_mul_f16_e32 v20, 0x2b26, v26
	v_mul_f16_e32 v23, 0x3846, v29
	v_fma_f16 v27, v12, s14, v10
	v_fma_f16 v17, v17, s11, v14
	;; [unrolled: 1-line block ×3, first 2 shown]
	v_fma_f16 v11, v12, s15, -v11
	v_fma_f16 v12, v22, s12, -v14
	;; [unrolled: 1-line block ×4, first 2 shown]
	v_fma_f16 v18, v18, s10, v6
	v_fma_f16 v8, v8, s10, v5
	v_fma_f16 v15, v22, s7, -v15
	v_fma_f16 v10, v21, s6, -v10
	v_fma_f16 v29, v28, s14, v23
	v_fma_f16 v19, v9, s13, v19
	v_add_f16_e32 v14, v14, v8
	v_add_f16_e32 v15, v15, v18
	v_fma_f16 v10, v13, s13, v10
	v_fma_f16 v7, v7, s6, -v23
	v_fma_f16 v4, v4, s7, -v20
	v_fma_f16 v24, v13, s13, v27
	v_fma_f16 v27, v9, s13, v29
	;; [unrolled: 1-line block ×3, first 2 shown]
	v_add_f16_e32 v17, v17, v18
	v_add_f16_e32 v26, v26, v8
	;; [unrolled: 1-line block ×3, first 2 shown]
	v_sub_f16_e32 v31, v14, v19
	v_sub_f16_e32 v13, v15, v10
	v_fma_f16 v7, v9, s13, v7
	v_add_f16_e32 v4, v4, v8
	v_add_f16_e32 v9, v10, v15
	;; [unrolled: 1-line block ×3, first 2 shown]
	v_mul_lo_u16_e32 v14, 0xb6, v25
	v_add_f16_e32 v30, v11, v12
	v_add_f16_e32 v8, v7, v4
	v_sub_f16_e32 v4, v4, v7
	v_sub_f16_e32 v7, v12, v11
	;; [unrolled: 1-line block ×3, first 2 shown]
	v_add_f16_e32 v12, v27, v26
	v_lshlrev_b32_e32 v14, 2, v14
	v_add3_u32 v1, 0, v1, v14
	v_pack_b32_f16 v5, v5, v6
	v_pack_b32_f16 v6, v12, v11
	ds_write2_b32 v1, v5, v6 offset1:26
	v_pack_b32_f16 v5, v10, v7
	v_pack_b32_f16 v4, v4, v9
	v_add_f16_e32 v28, v24, v17
	v_sub_f16_e32 v29, v26, v27
	ds_write2_b32 v1, v5, v4 offset0:52 offset1:78
	v_pack_b32_f16 v4, v8, v13
	v_pack_b32_f16 v5, v31, v30
	ds_write2_b32 v1, v4, v5 offset0:104 offset1:130
	v_pack_b32_f16 v4, v29, v28
	ds_write_b32 v1, v4 offset:624
.LBB0_29:
	s_or_b64 exec, exec, s[4:5]
	v_mul_u32_u24_e32 v1, 10, v0
	v_lshlrev_b32_e32 v1, 2, v1
	s_waitcnt lgkmcnt(0)
	s_barrier
	global_load_dwordx4 v[4:7], v1, s[8:9] offset:720
	global_load_dwordx4 v[8:11], v1, s[8:9] offset:736
	global_load_dwordx2 v[12:13], v1, s[8:9] offset:752
	ds_read2_b32 v[14:15], v16 offset1:182
	ds_read_b32 v28, v16 offset:7280
	v_add_u32_e32 v1, 0x500, v16
	v_add_u32_e32 v25, 0xb00, v16
	v_add_u32_e32 v26, 0x1000, v16
	v_add_u32_e32 v27, 0x1600, v16
	ds_read2_b32 v[17:18], v1 offset0:44 offset1:226
	ds_read2_b32 v[19:20], v26 offset0:68 offset1:250
	;; [unrolled: 1-line block ×4, first 2 shown]
	s_waitcnt lgkmcnt(5)
	v_lshrrev_b32_e32 v30, 16, v15
	s_waitcnt lgkmcnt(4)
	v_lshrrev_b32_e32 v29, 16, v28
	;; [unrolled: 2-line block ×3, first 2 shown]
	v_lshrrev_b32_e32 v36, 16, v18
	s_waitcnt lgkmcnt(1)
	v_lshrrev_b32_e32 v37, 16, v21
	v_lshrrev_b32_e32 v38, 16, v22
	;; [unrolled: 1-line block ×4, first 2 shown]
	s_waitcnt lgkmcnt(0)
	v_lshrrev_b32_e32 v33, 16, v23
	v_lshrrev_b32_e32 v34, 16, v24
	s_mov_b32 s4, 0xb853
	s_movk_i32 s10, 0x3abb
	s_movk_i32 s11, 0x3853
	s_mov_b32 s6, 0xbb47
	s_movk_i32 s7, 0x36a6
	s_movk_i32 s8, 0x3b47
	s_mov_b32 s5, 0xbbeb
	s_mov_b32 s9, 0xb08e
	s_movk_i32 s12, 0x3beb
	s_mov_b32 s13, 0xba0c
	s_mov_b32 s14, 0xb93d
	;; [unrolled: 3-line block ×3, first 2 shown]
	s_movk_i32 s18, 0x3482
	s_waitcnt vmcnt(0)
	s_barrier
	v_mul_f16_sdwa v39, v4, v30 dst_sel:DWORD dst_unused:UNUSED_PAD src0_sel:WORD_1 src1_sel:DWORD
	v_mul_f16_sdwa v40, v4, v15 dst_sel:DWORD dst_unused:UNUSED_PAD src0_sel:WORD_1 src1_sel:DWORD
	;; [unrolled: 1-line block ×4, first 2 shown]
	v_mul_f16_sdwa v57, v29, v13 dst_sel:DWORD dst_unused:UNUSED_PAD src0_sel:DWORD src1_sel:WORD_1
	v_mul_f16_sdwa v58, v28, v13 dst_sel:DWORD dst_unused:UNUSED_PAD src0_sel:DWORD src1_sel:WORD_1
	v_fma_f16 v15, v4, v15, v39
	v_fma_f16 v4, v4, v30, -v40
	v_mul_f16_sdwa v43, v6, v36 dst_sel:DWORD dst_unused:UNUSED_PAD src0_sel:WORD_1 src1_sel:DWORD
	v_mul_f16_sdwa v44, v6, v18 dst_sel:DWORD dst_unused:UNUSED_PAD src0_sel:WORD_1 src1_sel:DWORD
	v_fma_f16 v17, v5, v17, v41
	v_fma_f16 v5, v5, v35, -v42
	v_fma_f16 v28, v28, v13, v57
	v_fma_f16 v13, v29, v13, -v58
	v_add_f16_e32 v29, v15, v14
	v_add_f16_sdwa v30, v4, v14 dst_sel:DWORD dst_unused:UNUSED_PAD src0_sel:DWORD src1_sel:WORD_1
	v_mul_f16_sdwa v45, v7, v37 dst_sel:DWORD dst_unused:UNUSED_PAD src0_sel:WORD_1 src1_sel:DWORD
	v_mul_f16_sdwa v46, v7, v21 dst_sel:DWORD dst_unused:UNUSED_PAD src0_sel:WORD_1 src1_sel:DWORD
	v_fma_f16 v18, v6, v18, v43
	v_fma_f16 v6, v6, v36, -v44
	v_add_f16_e32 v29, v29, v17
	v_add_f16_e32 v30, v30, v5
	v_mul_f16_sdwa v47, v8, v38 dst_sel:DWORD dst_unused:UNUSED_PAD src0_sel:WORD_1 src1_sel:DWORD
	v_mul_f16_sdwa v48, v8, v22 dst_sel:DWORD dst_unused:UNUSED_PAD src0_sel:WORD_1 src1_sel:DWORD
	v_fma_f16 v21, v7, v21, v45
	v_fma_f16 v7, v7, v37, -v46
	v_add_f16_e32 v29, v29, v18
	v_add_f16_e32 v30, v30, v6
	v_mul_f16_sdwa v49, v31, v9 dst_sel:DWORD dst_unused:UNUSED_PAD src0_sel:DWORD src1_sel:WORD_1
	v_mul_f16_sdwa v50, v19, v9 dst_sel:DWORD dst_unused:UNUSED_PAD src0_sel:DWORD src1_sel:WORD_1
	v_fma_f16 v22, v8, v22, v47
	v_fma_f16 v8, v8, v38, -v48
	v_add_f16_e32 v29, v29, v21
	v_add_f16_e32 v30, v30, v7
	v_mul_f16_sdwa v51, v32, v10 dst_sel:DWORD dst_unused:UNUSED_PAD src0_sel:DWORD src1_sel:WORD_1
	v_mul_f16_sdwa v52, v20, v10 dst_sel:DWORD dst_unused:UNUSED_PAD src0_sel:DWORD src1_sel:WORD_1
	v_fma_f16 v19, v19, v9, v49
	v_fma_f16 v9, v31, v9, -v50
	v_add_f16_e32 v29, v29, v22
	v_add_f16_e32 v30, v30, v8
	v_mul_f16_sdwa v53, v33, v11 dst_sel:DWORD dst_unused:UNUSED_PAD src0_sel:DWORD src1_sel:WORD_1
	v_mul_f16_sdwa v54, v23, v11 dst_sel:DWORD dst_unused:UNUSED_PAD src0_sel:DWORD src1_sel:WORD_1
	v_fma_f16 v20, v20, v10, v51
	v_fma_f16 v10, v32, v10, -v52
	v_add_f16_e32 v29, v29, v19
	v_add_f16_e32 v30, v30, v9
	v_mul_f16_sdwa v55, v34, v12 dst_sel:DWORD dst_unused:UNUSED_PAD src0_sel:DWORD src1_sel:WORD_1
	v_mul_f16_sdwa v56, v24, v12 dst_sel:DWORD dst_unused:UNUSED_PAD src0_sel:DWORD src1_sel:WORD_1
	v_fma_f16 v23, v23, v11, v53
	v_fma_f16 v11, v33, v11, -v54
	v_add_f16_e32 v29, v29, v20
	v_add_f16_e32 v30, v30, v10
	v_fma_f16 v24, v24, v12, v55
	v_fma_f16 v12, v34, v12, -v56
	v_add_f16_e32 v29, v29, v23
	v_add_f16_e32 v30, v30, v11
	;; [unrolled: 1-line block ×3, first 2 shown]
	v_sub_f16_e32 v4, v4, v13
	v_add_f16_e32 v29, v29, v24
	v_add_f16_e32 v30, v30, v12
	;; [unrolled: 1-line block ×3, first 2 shown]
	v_sub_f16_e32 v15, v15, v28
	v_mul_f16_e32 v33, 0xb853, v4
	v_add_f16_e32 v28, v29, v28
	v_add_f16_sdwa v13, v30, v13 dst_sel:WORD_1 dst_unused:UNUSED_PAD src0_sel:DWORD src1_sel:DWORD
	v_mul_f16_e32 v29, 0x3abb, v32
	v_mul_f16_e32 v34, 0xbb47, v4
	;; [unrolled: 1-line block ×9, first 2 shown]
	v_or_b32_e32 v13, v13, v28
	v_fma_f16 v28, v31, s10, v33
	v_fma_f16 v30, v15, s11, v29
	v_fma_f16 v33, v31, s10, -v33
	v_fma_f16 v29, v15, s4, v29
	v_fma_f16 v35, v31, s7, v34
	v_fma_f16 v37, v15, s8, v36
	v_fma_f16 v34, v31, s7, -v34
	v_fma_f16 v36, v15, s6, v36
	v_fma_f16 v39, v31, s9, v38
	v_fma_f16 v41, v15, s12, v40
	v_fma_f16 v38, v31, s9, -v38
	v_fma_f16 v40, v15, s5, v40
	v_fma_f16 v43, v31, s14, v42
	v_fma_f16 v45, v15, s15, v44
	v_fma_f16 v42, v31, s14, -v42
	v_fma_f16 v44, v15, s13, v44
	v_fma_f16 v46, v31, s17, v4
	v_fma_f16 v47, v15, s18, v32
	v_fma_f16 v4, v31, s17, -v4
	v_fma_f16 v15, v15, s16, v32
	v_add_f16_e32 v31, v5, v12
	v_sub_f16_e32 v5, v5, v12
	v_add_f16_e32 v28, v28, v14
	v_add_f16_sdwa v30, v30, v14 dst_sel:DWORD dst_unused:UNUSED_PAD src0_sel:DWORD src1_sel:WORD_1
	v_add_f16_e32 v33, v33, v14
	v_add_f16_sdwa v29, v29, v14 dst_sel:DWORD dst_unused:UNUSED_PAD src0_sel:DWORD src1_sel:WORD_1
	v_add_f16_e32 v35, v35, v14
	v_add_f16_sdwa v37, v37, v14 dst_sel:DWORD dst_unused:UNUSED_PAD src0_sel:DWORD src1_sel:WORD_1
	v_add_f16_e32 v34, v34, v14
	v_add_f16_sdwa v36, v36, v14 dst_sel:DWORD dst_unused:UNUSED_PAD src0_sel:DWORD src1_sel:WORD_1
	v_add_f16_e32 v39, v39, v14
	v_add_f16_sdwa v41, v41, v14 dst_sel:DWORD dst_unused:UNUSED_PAD src0_sel:DWORD src1_sel:WORD_1
	v_add_f16_e32 v38, v38, v14
	v_add_f16_sdwa v40, v40, v14 dst_sel:DWORD dst_unused:UNUSED_PAD src0_sel:DWORD src1_sel:WORD_1
	v_add_f16_e32 v43, v43, v14
	v_add_f16_sdwa v45, v45, v14 dst_sel:DWORD dst_unused:UNUSED_PAD src0_sel:DWORD src1_sel:WORD_1
	v_add_f16_e32 v42, v42, v14
	v_add_f16_sdwa v44, v44, v14 dst_sel:DWORD dst_unused:UNUSED_PAD src0_sel:DWORD src1_sel:WORD_1
	v_add_f16_e32 v46, v46, v14
	v_add_f16_sdwa v47, v47, v14 dst_sel:DWORD dst_unused:UNUSED_PAD src0_sel:DWORD src1_sel:WORD_1
	v_add_f16_e32 v4, v4, v14
	v_add_f16_sdwa v14, v15, v14 dst_sel:DWORD dst_unused:UNUSED_PAD src0_sel:DWORD src1_sel:WORD_1
	v_add_f16_e32 v15, v17, v24
	v_mul_f16_e32 v12, 0xbb47, v5
	v_sub_f16_e32 v17, v17, v24
	v_fma_f16 v24, v15, s7, v12
	v_add_f16_e32 v24, v24, v28
	v_mul_f16_e32 v28, 0x36a6, v31
	v_fma_f16 v32, v17, s8, v28
	v_fma_f16 v28, v17, s6, v28
	v_fma_f16 v12, v15, s7, -v12
	v_add_f16_e32 v28, v28, v29
	v_mul_f16_e32 v29, 0xba0c, v5
	v_add_f16_e32 v30, v32, v30
	v_add_f16_e32 v12, v12, v33
	v_fma_f16 v32, v15, s14, v29
	v_mul_f16_e32 v33, 0xb93d, v31
	v_fma_f16 v29, v15, s14, -v29
	v_add_f16_e32 v32, v32, v35
	v_fma_f16 v35, v17, s15, v33
	v_add_f16_e32 v29, v29, v34
	v_fma_f16 v33, v17, s13, v33
	v_mul_f16_e32 v34, 0x3482, v5
	v_add_f16_e32 v35, v35, v37
	v_add_f16_e32 v33, v33, v36
	v_fma_f16 v36, v15, s17, v34
	v_mul_f16_e32 v37, 0xbbad, v31
	v_fma_f16 v34, v15, s17, -v34
	v_add_f16_e32 v36, v36, v39
	v_fma_f16 v39, v17, s16, v37
	v_add_f16_e32 v34, v34, v38
	v_fma_f16 v37, v17, s18, v37
	v_mul_f16_e32 v38, 0x3beb, v5
	v_add_f16_e32 v37, v37, v40
	v_fma_f16 v40, v15, s9, v38
	v_fma_f16 v38, v15, s9, -v38
	v_mul_f16_e32 v5, 0x3853, v5
	v_add_f16_e32 v39, v39, v41
	v_mul_f16_e32 v41, 0xb08e, v31
	v_add_f16_e32 v38, v38, v42
	v_fma_f16 v42, v15, s10, v5
	v_mul_f16_e32 v31, 0x3abb, v31
	v_fma_f16 v5, v15, s10, -v5
	v_add_f16_e32 v4, v5, v4
	v_fma_f16 v5, v17, s11, v31
	v_add_f16_e32 v15, v6, v11
	v_sub_f16_e32 v6, v6, v11
	v_add_f16_e32 v40, v40, v43
	v_fma_f16 v43, v17, s5, v41
	v_fma_f16 v41, v17, s12, v41
	v_add_f16_e32 v5, v5, v14
	v_add_f16_e32 v14, v18, v23
	v_mul_f16_e32 v11, 0xbbeb, v6
	v_add_f16_e32 v41, v41, v44
	v_fma_f16 v44, v17, s4, v31
	v_sub_f16_e32 v17, v18, v23
	v_fma_f16 v18, v14, s9, v11
	v_mul_f16_e32 v23, 0xb08e, v15
	v_fma_f16 v11, v14, s9, -v11
	v_add_f16_e32 v18, v18, v24
	v_fma_f16 v24, v17, s12, v23
	v_add_f16_e32 v11, v11, v12
	v_fma_f16 v12, v17, s5, v23
	v_mul_f16_e32 v23, 0x3482, v6
	v_add_f16_e32 v24, v24, v30
	v_add_f16_e32 v12, v12, v28
	v_fma_f16 v28, v14, s17, v23
	v_mul_f16_e32 v30, 0xbbad, v15
	v_fma_f16 v23, v14, s17, -v23
	v_fma_f16 v31, v17, s16, v30
	v_add_f16_e32 v23, v23, v29
	v_fma_f16 v29, v17, s18, v30
	v_mul_f16_e32 v30, 0x3b47, v6
	v_add_f16_e32 v28, v28, v32
	v_fma_f16 v32, v14, s7, v30
	v_fma_f16 v30, v14, s7, -v30
	v_add_f16_e32 v29, v29, v33
	v_mul_f16_e32 v33, 0x36a6, v15
	v_add_f16_e32 v30, v30, v34
	v_mul_f16_e32 v34, 0xb853, v6
	v_add_f16_e32 v31, v31, v35
	v_add_f16_e32 v32, v32, v36
	v_fma_f16 v35, v17, s6, v33
	v_fma_f16 v33, v17, s8, v33
	;; [unrolled: 1-line block ×3, first 2 shown]
	v_fma_f16 v34, v14, s10, -v34
	v_mul_f16_e32 v6, 0xba0c, v6
	v_add_f16_e32 v33, v33, v37
	v_mul_f16_e32 v37, 0x3abb, v15
	v_add_f16_e32 v34, v34, v38
	v_fma_f16 v38, v14, s14, v6
	v_mul_f16_e32 v15, 0xb93d, v15
	v_fma_f16 v6, v14, s14, -v6
	v_add_f16_e32 v4, v6, v4
	v_fma_f16 v6, v17, s13, v15
	v_add_f16_e32 v14, v7, v10
	v_sub_f16_e32 v7, v7, v10
	v_add_f16_e32 v5, v6, v5
	v_add_f16_e32 v6, v21, v20
	v_mul_f16_e32 v10, 0xba0c, v7
	v_add_f16_e32 v35, v35, v39
	v_add_f16_e32 v36, v36, v40
	v_fma_f16 v39, v17, s11, v37
	v_fma_f16 v37, v17, s4, v37
	;; [unrolled: 1-line block ×4, first 2 shown]
	v_sub_f16_e32 v15, v21, v20
	v_add_f16_e32 v17, v17, v18
	v_mul_f16_e32 v18, 0xb93d, v14
	v_fma_f16 v10, v6, s14, -v10
	v_add_f16_e32 v10, v10, v11
	v_fma_f16 v11, v15, s13, v18
	v_add_f16_e32 v11, v11, v12
	v_mul_f16_e32 v12, 0x3beb, v7
	v_fma_f16 v20, v15, s15, v18
	v_fma_f16 v18, v6, s9, v12
	v_fma_f16 v12, v6, s9, -v12
	v_mul_f16_e32 v21, 0xb08e, v14
	v_add_f16_e32 v12, v12, v23
	v_mul_f16_e32 v23, 0xb853, v7
	v_add_f16_e32 v20, v20, v24
	v_add_f16_e32 v18, v18, v28
	v_fma_f16 v24, v15, s5, v21
	v_fma_f16 v21, v15, s12, v21
	;; [unrolled: 1-line block ×3, first 2 shown]
	v_fma_f16 v23, v6, s10, -v23
	v_add_f16_e32 v21, v21, v29
	v_mul_f16_e32 v29, 0x3abb, v14
	v_add_f16_e32 v23, v23, v30
	v_mul_f16_e32 v30, 0xb482, v7
	v_add_f16_e32 v24, v24, v31
	v_add_f16_e32 v28, v28, v32
	v_fma_f16 v31, v15, s11, v29
	v_fma_f16 v29, v15, s4, v29
	;; [unrolled: 1-line block ×3, first 2 shown]
	v_fma_f16 v30, v6, s17, -v30
	v_mul_f16_e32 v7, 0x3b47, v7
	v_add_f16_e32 v29, v29, v33
	v_mul_f16_e32 v33, 0xbbad, v14
	v_add_f16_e32 v30, v30, v34
	v_fma_f16 v34, v6, s7, v7
	v_mul_f16_e32 v14, 0x36a6, v14
	v_fma_f16 v6, v6, s7, -v7
	v_add_f16_e32 v4, v6, v4
	v_fma_f16 v6, v15, s8, v14
	v_add_f16_e32 v7, v8, v9
	v_sub_f16_e32 v8, v8, v9
	v_add_f16_e32 v5, v6, v5
	v_add_f16_e32 v6, v22, v19
	v_mul_f16_e32 v9, 0xb482, v8
	v_add_f16_e32 v31, v31, v35
	v_add_f16_e32 v32, v32, v36
	v_fma_f16 v35, v15, s18, v33
	v_fma_f16 v33, v15, s16, v33
	;; [unrolled: 1-line block ×4, first 2 shown]
	v_sub_f16_e32 v14, v22, v19
	v_add_f16_e32 v15, v15, v17
	v_mul_f16_e32 v17, 0xbbad, v7
	v_fma_f16 v9, v6, s17, -v9
	v_add_f16_e32 v9, v9, v10
	v_fma_f16 v10, v14, s16, v17
	v_add_f16_e32 v10, v10, v11
	v_mul_f16_e32 v11, 0x3853, v8
	v_fma_f16 v19, v14, s18, v17
	v_fma_f16 v17, v6, s10, v11
	v_add_f16_e32 v17, v17, v18
	v_mul_f16_e32 v18, 0x3abb, v7
	v_fma_f16 v11, v6, s10, -v11
	v_add_f16_e32 v19, v19, v20
	v_fma_f16 v20, v14, s4, v18
	v_add_f16_e32 v11, v11, v12
	v_fma_f16 v12, v14, s11, v18
	v_mul_f16_e32 v18, 0xba0c, v8
	v_add_f16_e32 v12, v12, v21
	v_fma_f16 v21, v6, s14, v18
	v_fma_f16 v18, v6, s14, -v18
	v_mul_f16_e32 v22, 0xb93d, v7
	v_add_f16_e32 v18, v18, v23
	v_mul_f16_e32 v23, 0x3b47, v8
	v_add_f16_e32 v20, v20, v24
	v_add_f16_e32 v21, v21, v28
	v_fma_f16 v24, v14, s15, v22
	v_fma_f16 v22, v14, s13, v22
	;; [unrolled: 1-line block ×3, first 2 shown]
	v_fma_f16 v23, v6, s7, -v23
	v_mul_f16_e32 v8, 0xbbeb, v8
	v_add_f16_e32 v43, v43, v45
	v_add_f16_e32 v42, v42, v46
	;; [unrolled: 1-line block ×4, first 2 shown]
	v_mul_f16_e32 v29, 0x36a6, v7
	v_add_f16_e32 v23, v23, v30
	v_fma_f16 v30, v6, s9, v8
	v_mul_f16_e32 v7, 0xb08e, v7
	v_fma_f16 v6, v6, s9, -v8
	v_add_f16_e32 v39, v39, v43
	v_add_f16_e32 v38, v38, v42
	;; [unrolled: 1-line block ×4, first 2 shown]
	v_fma_f16 v6, v14, s5, v7
	v_add_f16_e32 v37, v37, v41
	v_add_f16_e32 v35, v35, v39
	;; [unrolled: 1-line block ×6, first 2 shown]
	v_fma_f16 v31, v14, s6, v29
	v_fma_f16 v32, v14, s12, v7
	v_add_f16_e32 v5, v6, v5
	v_pack_b32_f16 v6, v15, v19
	v_add_f16_e32 v33, v33, v37
	v_add_f16_e32 v31, v31, v35
	v_fma_f16 v29, v14, s8, v29
	v_add_f16_e32 v30, v30, v34
	v_add_f16_e32 v32, v32, v36
	ds_write2_b32 v16, v13, v6 offset1:182
	v_pack_b32_f16 v6, v17, v20
	v_pack_b32_f16 v7, v21, v24
	v_add_f16_e32 v29, v29, v33
	ds_write2_b32 v1, v6, v7 offset0:44 offset1:226
	v_pack_b32_f16 v1, v28, v31
	v_pack_b32_f16 v6, v30, v32
	ds_write2_b32 v25, v1, v6 offset0:24 offset1:206
	v_pack_b32_f16 v1, v4, v5
	v_pack_b32_f16 v4, v23, v29
	;; [unrolled: 3-line block ×3, first 2 shown]
	ds_write2_b32 v27, v1, v4 offset0:48 offset1:230
	v_pack_b32_f16 v1, v9, v10
	ds_write_b32 v16, v1 offset:7280
	s_waitcnt lgkmcnt(0)
	s_barrier
	s_and_saveexec_b64 s[4:5], s[0:1]
	s_cbranch_execz .LBB0_31
; %bb.30:
	v_lshl_add_u32 v6, v0, 2, 0
	v_mov_b32_e32 v1, 0
	ds_read2_b32 v[4:5], v6 offset1:182
	v_mov_b32_e32 v7, s3
	v_add_co_u32_e32 v8, vcc, s2, v2
	v_addc_co_u32_e32 v7, vcc, v7, v3, vcc
	v_lshlrev_b64 v[2:3], 2, v[0:1]
	v_add_co_u32_e32 v2, vcc, v8, v2
	v_addc_co_u32_e32 v3, vcc, v7, v3, vcc
	s_waitcnt lgkmcnt(0)
	global_store_dword v[2:3], v4, off
	v_add_u32_e32 v2, 0xb6, v0
	v_mov_b32_e32 v3, v1
	v_lshlrev_b64 v[2:3], 2, v[2:3]
	v_add_u32_e32 v4, 0x500, v6
	v_add_co_u32_e32 v2, vcc, v8, v2
	v_addc_co_u32_e32 v3, vcc, v7, v3, vcc
	global_store_dword v[2:3], v5, off
	v_add_u32_e32 v2, 0x16c, v0
	v_mov_b32_e32 v3, v1
	ds_read2_b32 v[4:5], v4 offset0:44 offset1:226
	v_lshlrev_b64 v[2:3], 2, v[2:3]
	v_add_co_u32_e32 v2, vcc, v8, v2
	v_addc_co_u32_e32 v3, vcc, v7, v3, vcc
	s_waitcnt lgkmcnt(0)
	global_store_dword v[2:3], v4, off
	v_add_u32_e32 v2, 0x222, v0
	v_mov_b32_e32 v3, v1
	v_lshlrev_b64 v[2:3], 2, v[2:3]
	v_add_u32_e32 v4, 0xb00, v6
	v_add_co_u32_e32 v2, vcc, v8, v2
	v_addc_co_u32_e32 v3, vcc, v7, v3, vcc
	global_store_dword v[2:3], v5, off
	v_add_u32_e32 v2, 0x2d8, v0
	v_mov_b32_e32 v3, v1
	ds_read2_b32 v[4:5], v4 offset0:24 offset1:206
	;; [unrolled: 15-line block ×4, first 2 shown]
	v_lshlrev_b64 v[2:3], 2, v[2:3]
	v_add_co_u32_e32 v2, vcc, v8, v2
	v_addc_co_u32_e32 v3, vcc, v7, v3, vcc
	s_waitcnt lgkmcnt(0)
	global_store_dword v[2:3], v4, off
	v_add_u32_e32 v2, 0x666, v0
	v_mov_b32_e32 v3, v1
	v_lshlrev_b64 v[2:3], 2, v[2:3]
	v_add_u32_e32 v0, 0x71c, v0
	v_add_co_u32_e32 v2, vcc, v8, v2
	v_addc_co_u32_e32 v3, vcc, v7, v3, vcc
	global_store_dword v[2:3], v5, off
	ds_read_b32 v2, v6 offset:7280
	v_lshlrev_b64 v[0:1], 2, v[0:1]
	v_add_co_u32_e32 v0, vcc, v8, v0
	v_addc_co_u32_e32 v1, vcc, v7, v1, vcc
	s_waitcnt lgkmcnt(0)
	global_store_dword v[0:1], v2, off
.LBB0_31:
	s_endpgm
	.section	.rodata,"a",@progbits
	.p2align	6, 0x0
	.amdhsa_kernel fft_rtc_back_len2002_factors_2_13_7_11_wgs_182_tpt_182_halfLds_half_ip_CI_unitstride_sbrr_C2R_dirReg
		.amdhsa_group_segment_fixed_size 0
		.amdhsa_private_segment_fixed_size 0
		.amdhsa_kernarg_size 88
		.amdhsa_user_sgpr_count 6
		.amdhsa_user_sgpr_private_segment_buffer 1
		.amdhsa_user_sgpr_dispatch_ptr 0
		.amdhsa_user_sgpr_queue_ptr 0
		.amdhsa_user_sgpr_kernarg_segment_ptr 1
		.amdhsa_user_sgpr_dispatch_id 0
		.amdhsa_user_sgpr_flat_scratch_init 0
		.amdhsa_user_sgpr_private_segment_size 0
		.amdhsa_uses_dynamic_stack 0
		.amdhsa_system_sgpr_private_segment_wavefront_offset 0
		.amdhsa_system_sgpr_workgroup_id_x 1
		.amdhsa_system_sgpr_workgroup_id_y 0
		.amdhsa_system_sgpr_workgroup_id_z 0
		.amdhsa_system_sgpr_workgroup_info 0
		.amdhsa_system_vgpr_workitem_id 0
		.amdhsa_next_free_vgpr 187
		.amdhsa_next_free_sgpr 22
		.amdhsa_reserve_vcc 1
		.amdhsa_reserve_flat_scratch 0
		.amdhsa_float_round_mode_32 0
		.amdhsa_float_round_mode_16_64 0
		.amdhsa_float_denorm_mode_32 3
		.amdhsa_float_denorm_mode_16_64 3
		.amdhsa_dx10_clamp 1
		.amdhsa_ieee_mode 1
		.amdhsa_fp16_overflow 0
		.amdhsa_exception_fp_ieee_invalid_op 0
		.amdhsa_exception_fp_denorm_src 0
		.amdhsa_exception_fp_ieee_div_zero 0
		.amdhsa_exception_fp_ieee_overflow 0
		.amdhsa_exception_fp_ieee_underflow 0
		.amdhsa_exception_fp_ieee_inexact 0
		.amdhsa_exception_int_div_zero 0
	.end_amdhsa_kernel
	.text
.Lfunc_end0:
	.size	fft_rtc_back_len2002_factors_2_13_7_11_wgs_182_tpt_182_halfLds_half_ip_CI_unitstride_sbrr_C2R_dirReg, .Lfunc_end0-fft_rtc_back_len2002_factors_2_13_7_11_wgs_182_tpt_182_halfLds_half_ip_CI_unitstride_sbrr_C2R_dirReg
                                        ; -- End function
	.section	.AMDGPU.csdata,"",@progbits
; Kernel info:
; codeLenInByte = 11692
; NumSgprs: 26
; NumVgprs: 187
; ScratchSize: 0
; MemoryBound: 0
; FloatMode: 240
; IeeeMode: 1
; LDSByteSize: 0 bytes/workgroup (compile time only)
; SGPRBlocks: 3
; VGPRBlocks: 46
; NumSGPRsForWavesPerEU: 26
; NumVGPRsForWavesPerEU: 187
; Occupancy: 1
; WaveLimiterHint : 1
; COMPUTE_PGM_RSRC2:SCRATCH_EN: 0
; COMPUTE_PGM_RSRC2:USER_SGPR: 6
; COMPUTE_PGM_RSRC2:TRAP_HANDLER: 0
; COMPUTE_PGM_RSRC2:TGID_X_EN: 1
; COMPUTE_PGM_RSRC2:TGID_Y_EN: 0
; COMPUTE_PGM_RSRC2:TGID_Z_EN: 0
; COMPUTE_PGM_RSRC2:TIDIG_COMP_CNT: 0
	.type	__hip_cuid_c82b509b5c296f1d,@object ; @__hip_cuid_c82b509b5c296f1d
	.section	.bss,"aw",@nobits
	.globl	__hip_cuid_c82b509b5c296f1d
__hip_cuid_c82b509b5c296f1d:
	.byte	0                               ; 0x0
	.size	__hip_cuid_c82b509b5c296f1d, 1

	.ident	"AMD clang version 19.0.0git (https://github.com/RadeonOpenCompute/llvm-project roc-6.4.0 25133 c7fe45cf4b819c5991fe208aaa96edf142730f1d)"
	.section	".note.GNU-stack","",@progbits
	.addrsig
	.addrsig_sym __hip_cuid_c82b509b5c296f1d
	.amdgpu_metadata
---
amdhsa.kernels:
  - .args:
      - .actual_access:  read_only
        .address_space:  global
        .offset:         0
        .size:           8
        .value_kind:     global_buffer
      - .offset:         8
        .size:           8
        .value_kind:     by_value
      - .actual_access:  read_only
        .address_space:  global
        .offset:         16
        .size:           8
        .value_kind:     global_buffer
      - .actual_access:  read_only
        .address_space:  global
        .offset:         24
        .size:           8
        .value_kind:     global_buffer
      - .offset:         32
        .size:           8
        .value_kind:     by_value
      - .actual_access:  read_only
        .address_space:  global
        .offset:         40
        .size:           8
        .value_kind:     global_buffer
      - .actual_access:  read_only
        .address_space:  global
        .offset:         48
        .size:           8
        .value_kind:     global_buffer
      - .offset:         56
        .size:           4
        .value_kind:     by_value
      - .actual_access:  read_only
        .address_space:  global
        .offset:         64
        .size:           8
        .value_kind:     global_buffer
      - .actual_access:  read_only
        .address_space:  global
        .offset:         72
        .size:           8
        .value_kind:     global_buffer
      - .address_space:  global
        .offset:         80
        .size:           8
        .value_kind:     global_buffer
    .group_segment_fixed_size: 0
    .kernarg_segment_align: 8
    .kernarg_segment_size: 88
    .language:       OpenCL C
    .language_version:
      - 2
      - 0
    .max_flat_workgroup_size: 182
    .name:           fft_rtc_back_len2002_factors_2_13_7_11_wgs_182_tpt_182_halfLds_half_ip_CI_unitstride_sbrr_C2R_dirReg
    .private_segment_fixed_size: 0
    .sgpr_count:     26
    .sgpr_spill_count: 0
    .symbol:         fft_rtc_back_len2002_factors_2_13_7_11_wgs_182_tpt_182_halfLds_half_ip_CI_unitstride_sbrr_C2R_dirReg.kd
    .uniform_work_group_size: 1
    .uses_dynamic_stack: false
    .vgpr_count:     187
    .vgpr_spill_count: 0
    .wavefront_size: 64
amdhsa.target:   amdgcn-amd-amdhsa--gfx906
amdhsa.version:
  - 1
  - 2
...

	.end_amdgpu_metadata
